;; amdgpu-corpus repo=ROCm/rocBLAS kind=compiled arch=gfx1100 opt=O3
	.text
	.amdgcn_target "amdgcn-amd-amdhsa--gfx1100"
	.amdhsa_code_object_version 6
	.section	.text._ZL25rocblas_symm_scale_kernelILi128ELi8EPKfPfEviiT1_T2_llli,"axG",@progbits,_ZL25rocblas_symm_scale_kernelILi128ELi8EPKfPfEviiT1_T2_llli,comdat
	.globl	_ZL25rocblas_symm_scale_kernelILi128ELi8EPKfPfEviiT1_T2_llli ; -- Begin function _ZL25rocblas_symm_scale_kernelILi128ELi8EPKfPfEviiT1_T2_llli
	.p2align	8
	.type	_ZL25rocblas_symm_scale_kernelILi128ELi8EPKfPfEviiT1_T2_llli,@function
_ZL25rocblas_symm_scale_kernelILi128ELi8EPKfPfEviiT1_T2_llli: ; @_ZL25rocblas_symm_scale_kernelILi128ELi8EPKfPfEviiT1_T2_llli
; %bb.0:
	s_load_b256 s[4:11], s[0:1], 0x8
	s_waitcnt lgkmcnt(0)
	s_load_b32 s12, s[4:5], 0x0
	s_waitcnt lgkmcnt(0)
	v_cmp_eq_f32_e64 s2, s12, 1.0
	s_delay_alu instid0(VALU_DEP_1)
	s_and_b32 vcc_lo, exec_lo, s2
	s_cbranch_vccnz .LBB0_7
; %bb.1:
	s_load_b64 s[2:3], s[0:1], 0x0
	v_bfe_u32 v2, v0, 10, 10
	v_and_b32_e32 v3, 0x3ff, v0
	v_mov_b32_e32 v1, 0
	s_delay_alu instid0(VALU_DEP_3) | instskip(NEXT) | instid1(VALU_DEP_3)
	v_lshl_add_u32 v0, s14, 3, v2
	v_lshl_add_u32 v2, s13, 7, v3
	s_waitcnt lgkmcnt(0)
	s_ashr_i32 s5, s3, 31
	s_mov_b32 s4, s3
	s_delay_alu instid0(VALU_DEP_1) | instskip(SKIP_1) | instid1(VALU_DEP_2)
	v_cmp_gt_u32_e64 s2, s2, v2
	v_cmp_gt_i64_e32 vcc_lo, s[4:5], v[0:1]
	s_and_b32 s2, s2, vcc_lo
	s_delay_alu instid0(SALU_CYCLE_1)
	s_and_saveexec_b32 s3, s2
	s_cbranch_execz .LBB0_7
; %bb.2:
	s_clause 0x1
	s_load_b32 s13, s[0:1], 0x3c
	s_load_b64 s[2:3], s[0:1], 0x28
	v_mad_u64_u32 v[4:5], null, s10, v0, 0
	s_lshl_b64 s[8:9], s[8:9], 2
	s_delay_alu instid0(VALU_DEP_1) | instskip(NEXT) | instid1(VALU_DEP_1)
	v_mov_b32_e32 v3, v5
	v_mad_u64_u32 v[5:6], null, s11, v0, v[3:4]
	v_mov_b32_e32 v3, v1
	s_waitcnt lgkmcnt(0)
	s_lshl_b32 s1, s13, 3
	s_mul_i32 s0, s3, s15
	s_mul_hi_u32 s3, s2, s15
	s_mul_i32 s2, s2, s15
	s_add_i32 s3, s3, s0
	v_lshlrev_b64 v[4:5], 2, v[4:5]
	s_lshl_b64 s[2:3], s[2:3], 2
	v_lshlrev_b64 v[2:3], 2, v[2:3]
	s_add_u32 s2, s8, s2
	s_addc_u32 s3, s9, s3
	s_mul_i32 s0, s11, s1
	v_add_co_u32 v4, vcc_lo, s2, v4
	v_add_co_ci_u32_e32 v5, vcc_lo, s3, v5, vcc_lo
	s_mul_hi_u32 s2, s10, s1
	s_delay_alu instid0(VALU_DEP_2) | instskip(NEXT) | instid1(VALU_DEP_2)
	v_add_co_u32 v2, vcc_lo, v4, v2
	v_add_co_ci_u32_e32 v3, vcc_lo, v5, v3, vcc_lo
	s_add_i32 s3, s2, s0
	s_delay_alu instid0(VALU_DEP_2) | instskip(NEXT) | instid1(VALU_DEP_2)
	v_add_co_u32 v2, vcc_lo, s6, v2
	v_add_co_ci_u32_e32 v3, vcc_lo, s7, v3, vcc_lo
	v_cmp_neq_f32_e64 s6, s12, 0
	s_mul_i32 s2, s10, s1
	s_mov_b32 s7, 0
	s_lshl_b64 s[2:3], s[2:3], 2
	s_branch .LBB0_5
	.p2align	6
.LBB0_3:                                ;   in Loop: Header=BB0_5 Depth=1
	global_load_b32 v4, v[2:3], off
	s_waitcnt vmcnt(0)
	v_mul_f32_e32 v4, s12, v4
.LBB0_4:                                ;   in Loop: Header=BB0_5 Depth=1
	v_add_co_u32 v0, vcc_lo, v0, s1
	v_add_co_ci_u32_e32 v1, vcc_lo, 0, v1, vcc_lo
	global_store_b32 v[2:3], v4, off
	v_add_co_u32 v2, s0, v2, s2
	v_cmp_le_i64_e32 vcc_lo, s[4:5], v[0:1]
	v_add_co_ci_u32_e64 v3, s0, s3, v3, s0
	s_or_b32 s7, vcc_lo, s7
	s_delay_alu instid0(SALU_CYCLE_1)
	s_and_not1_b32 exec_lo, exec_lo, s7
	s_cbranch_execz .LBB0_7
.LBB0_5:                                ; =>This Inner Loop Header: Depth=1
	s_and_not1_b32 vcc_lo, exec_lo, s6
	s_cbranch_vccz .LBB0_3
; %bb.6:                                ;   in Loop: Header=BB0_5 Depth=1
	v_mov_b32_e32 v4, 0
	s_branch .LBB0_4
.LBB0_7:
	s_nop 0
	s_sendmsg sendmsg(MSG_DEALLOC_VGPRS)
	s_endpgm
	.section	.rodata,"a",@progbits
	.p2align	6, 0x0
	.amdhsa_kernel _ZL25rocblas_symm_scale_kernelILi128ELi8EPKfPfEviiT1_T2_llli
		.amdhsa_group_segment_fixed_size 0
		.amdhsa_private_segment_fixed_size 0
		.amdhsa_kernarg_size 312
		.amdhsa_user_sgpr_count 13
		.amdhsa_user_sgpr_dispatch_ptr 0
		.amdhsa_user_sgpr_queue_ptr 0
		.amdhsa_user_sgpr_kernarg_segment_ptr 1
		.amdhsa_user_sgpr_dispatch_id 0
		.amdhsa_user_sgpr_private_segment_size 0
		.amdhsa_wavefront_size32 1
		.amdhsa_uses_dynamic_stack 0
		.amdhsa_enable_private_segment 0
		.amdhsa_system_sgpr_workgroup_id_x 1
		.amdhsa_system_sgpr_workgroup_id_y 1
		.amdhsa_system_sgpr_workgroup_id_z 1
		.amdhsa_system_sgpr_workgroup_info 0
		.amdhsa_system_vgpr_workitem_id 1
		.amdhsa_next_free_vgpr 7
		.amdhsa_next_free_sgpr 16
		.amdhsa_reserve_vcc 1
		.amdhsa_float_round_mode_32 0
		.amdhsa_float_round_mode_16_64 0
		.amdhsa_float_denorm_mode_32 3
		.amdhsa_float_denorm_mode_16_64 3
		.amdhsa_dx10_clamp 1
		.amdhsa_ieee_mode 1
		.amdhsa_fp16_overflow 0
		.amdhsa_workgroup_processor_mode 1
		.amdhsa_memory_ordered 1
		.amdhsa_forward_progress 0
		.amdhsa_shared_vgpr_count 0
		.amdhsa_exception_fp_ieee_invalid_op 0
		.amdhsa_exception_fp_denorm_src 0
		.amdhsa_exception_fp_ieee_div_zero 0
		.amdhsa_exception_fp_ieee_overflow 0
		.amdhsa_exception_fp_ieee_underflow 0
		.amdhsa_exception_fp_ieee_inexact 0
		.amdhsa_exception_int_div_zero 0
	.end_amdhsa_kernel
	.section	.text._ZL25rocblas_symm_scale_kernelILi128ELi8EPKfPfEviiT1_T2_llli,"axG",@progbits,_ZL25rocblas_symm_scale_kernelILi128ELi8EPKfPfEviiT1_T2_llli,comdat
.Lfunc_end0:
	.size	_ZL25rocblas_symm_scale_kernelILi128ELi8EPKfPfEviiT1_T2_llli, .Lfunc_end0-_ZL25rocblas_symm_scale_kernelILi128ELi8EPKfPfEviiT1_T2_llli
                                        ; -- End function
	.section	.AMDGPU.csdata,"",@progbits
; Kernel info:
; codeLenInByte = 420
; NumSgprs: 18
; NumVgprs: 7
; ScratchSize: 0
; MemoryBound: 0
; FloatMode: 240
; IeeeMode: 1
; LDSByteSize: 0 bytes/workgroup (compile time only)
; SGPRBlocks: 2
; VGPRBlocks: 0
; NumSGPRsForWavesPerEU: 18
; NumVGPRsForWavesPerEU: 7
; Occupancy: 16
; WaveLimiterHint : 0
; COMPUTE_PGM_RSRC2:SCRATCH_EN: 0
; COMPUTE_PGM_RSRC2:USER_SGPR: 13
; COMPUTE_PGM_RSRC2:TRAP_HANDLER: 0
; COMPUTE_PGM_RSRC2:TGID_X_EN: 1
; COMPUTE_PGM_RSRC2:TGID_Y_EN: 1
; COMPUTE_PGM_RSRC2:TGID_Z_EN: 1
; COMPUTE_PGM_RSRC2:TIDIG_COMP_CNT: 1
	.section	.text._ZL24rocblas_symm_hemm_kernelILb0ELb0ELi32EPKfS1_PfEvbiiT2_T3_lllS4_lllT4_llli,"axG",@progbits,_ZL24rocblas_symm_hemm_kernelILb0ELb0ELi32EPKfS1_PfEvbiiT2_T3_lllS4_lllT4_llli,comdat
	.globl	_ZL24rocblas_symm_hemm_kernelILb0ELb0ELi32EPKfS1_PfEvbiiT2_T3_lllS4_lllT4_llli ; -- Begin function _ZL24rocblas_symm_hemm_kernelILb0ELb0ELi32EPKfS1_PfEvbiiT2_T3_lllS4_lllT4_llli
	.p2align	8
	.type	_ZL24rocblas_symm_hemm_kernelILb0ELb0ELi32EPKfS1_PfEvbiiT2_T3_lllS4_lllT4_llli,@function
_ZL24rocblas_symm_hemm_kernelILb0ELb0ELi32EPKfS1_PfEvbiiT2_T3_lllS4_lllT4_llli: ; @_ZL24rocblas_symm_hemm_kernelILb0ELb0ELi32EPKfS1_PfEvbiiT2_T3_lllS4_lllT4_llli
; %bb.0:
	s_load_b512 s[16:31], s[0:1], 0x10
	s_waitcnt lgkmcnt(0)
	s_load_b32 s3, s[16:17], 0x0
	s_waitcnt lgkmcnt(0)
	v_cmp_eq_f32_e64 s2, s3, 0
	s_delay_alu instid0(VALU_DEP_1)
	s_and_b32 vcc_lo, exec_lo, s2
	s_cbranch_vccnz .LBB1_13
; %bb.1:
	s_load_b128 s[36:39], s[0:1], 0x0
	s_waitcnt lgkmcnt(0)
	s_add_i32 s2, s38, -1
	s_delay_alu instid0(SALU_CYCLE_1) | instskip(NEXT) | instid1(SALU_CYCLE_1)
	s_ashr_i32 s4, s2, 31
	s_lshr_b32 s4, s4, 27
	s_delay_alu instid0(SALU_CYCLE_1) | instskip(NEXT) | instid1(SALU_CYCLE_1)
	s_add_i32 s2, s2, s4
	s_ashr_i32 s12, s2, 5
	s_delay_alu instid0(SALU_CYCLE_1)
	s_cmp_gt_i32 s14, s12
	s_cbranch_scc1 .LBB1_13
; %bb.2:
	s_load_b256 s[4:11], s[0:1], 0x50
	s_mul_i32 s2, s15, s25
	s_mul_hi_u32 s17, s15, s24
	s_load_b64 s[34:35], s[0:1], 0x70
	s_mul_i32 s16, s15, s24
	s_add_i32 s17, s17, s2
	v_and_b32_e32 v5, 0x3ff, v0
	s_lshl_b64 s[24:25], s[16:17], 2
	s_load_b32 s16, s[0:1], 0x84
	s_add_u32 s2, s18, s24
	s_addc_u32 s17, s19, s25
	s_lshl_b64 s[0:1], s[20:21], 2
	v_bfe_u32 v6, v0, 10, 10
	v_lshl_add_u32 v0, s13, 5, v5
	s_add_u32 s13, s2, s0
	s_addc_u32 s17, s17, s1
	v_lshlrev_b32_e32 v7, 7, v5
	v_lshlrev_b32_e32 v3, 2, v6
	v_ashrrev_i32_e32 v1, 31, v0
	s_waitcnt lgkmcnt(0)
	s_mul_i32 s1, s15, s5
	s_mul_hi_u32 s2, s15, s4
	s_mul_i32 s0, s15, s4
	s_add_i32 s1, s2, s1
	s_mul_i32 s2, s15, s35
	s_lshl_b64 s[0:1], s[0:1], 2
	s_mul_hi_u32 s19, s15, s34
	s_add_u32 s4, s26, s0
	s_addc_u32 s5, s27, s1
	s_lshl_b64 s[0:1], s[28:29], 2
	s_mul_i32 s18, s15, s34
	s_add_u32 s4, s4, s0
	s_addc_u32 s5, s5, s1
	s_bitcmp1_b32 s36, 0
	v_lshlrev_b64 v[1:2], 2, v[0:1]
	s_cselect_b32 s0, -1, 0
	s_add_i32 s19, s19, s2
	v_or_b32_e32 v8, 0x1000, v3
	s_lshl_b64 s[18:19], s[18:19], 2
	v_add_nc_u32_e32 v9, v7, v3
	s_add_u32 s1, s6, s18
	s_addc_u32 s2, s7, s19
	s_lshl_b64 s[6:7], s[8:9], 2
	v_add_nc_u32_e32 v10, v8, v7
	s_add_u32 s6, s1, s6
	s_addc_u32 s2, s2, s7
	v_add_co_u32 v11, vcc_lo, s6, v1
	v_cmp_gt_i32_e64 s1, s37, v0
	v_add_co_ci_u32_e32 v12, vcc_lo, s2, v2, vcc_lo
	v_add_nc_u32_e32 v13, 0x400, v8
	v_add_nc_u32_e32 v14, 0x800, v8
	;; [unrolled: 1-line block ×3, first 2 shown]
	s_cmp_gt_i32 s37, 0
	s_cselect_b32 s6, -1, 0
	s_branch .LBB1_4
.LBB1_3:                                ;   in Loop: Header=BB1_4 Depth=1
	s_add_i32 s14, s14, s16
	s_delay_alu instid0(SALU_CYCLE_1)
	s_cmp_gt_i32 s14, s12
	s_cbranch_scc1 .LBB1_13
.LBB1_4:                                ; =>This Loop Header: Depth=1
                                        ;     Child Loop BB1_7 Depth 2
	s_and_not1_b32 vcc_lo, exec_lo, s6
	s_cbranch_vccnz .LBB1_3
; %bb.5:                                ;   in Loop: Header=BB1_4 Depth=1
	v_lshl_add_u32 v16, s14, 5, v6
	s_mov_b32 s8, 0
	s_delay_alu instid0(VALU_DEP_1) | instskip(SKIP_3) | instid1(VALU_DEP_4)
	v_ashrrev_i32_e32 v17, 31, v16
	v_mul_lo_u32 v18, v16, s31
	v_mad_u64_u32 v[1:2], null, v16, s30, 0
	v_mul_lo_u32 v20, v16, s11
	v_mul_lo_u32 v19, v17, s30
	v_mad_u64_u32 v[3:4], null, v16, s10, 0
	v_mul_lo_u32 v17, v17, s10
	v_cmp_gt_i32_e32 vcc_lo, s38, v16
	s_delay_alu instid0(VALU_DEP_4) | instskip(SKIP_1) | instid1(VALU_DEP_3)
	v_add3_u32 v2, v2, v18, v19
	s_and_b32 s7, s1, vcc_lo
	v_add3_u32 v4, v4, v20, v17
	s_delay_alu instid0(VALU_DEP_2) | instskip(NEXT) | instid1(VALU_DEP_2)
	v_lshlrev_b64 v[1:2], 2, v[1:2]
	v_lshlrev_b64 v[3:4], 2, v[3:4]
	s_delay_alu instid0(VALU_DEP_2) | instskip(NEXT) | instid1(VALU_DEP_1)
	v_add_co_u32 v16, s2, s4, v1
	v_add_co_ci_u32_e64 v17, s2, s5, v2, s2
	s_delay_alu instid0(VALU_DEP_3) | instskip(NEXT) | instid1(VALU_DEP_1)
	v_add_co_u32 v1, s2, v11, v3
	v_add_co_ci_u32_e64 v2, s2, v12, v4, s2
	s_branch .LBB1_7
.LBB1_6:                                ;   in Loop: Header=BB1_7 Depth=2
	s_or_b32 exec_lo, exec_lo, s2
	s_add_i32 s8, s8, 32
	s_waitcnt_vscnt null, 0x0
	s_cmp_ge_i32 s8, s37
	s_barrier
	buffer_gl0_inv
	s_cbranch_scc1 .LBB1_3
.LBB1_7:                                ;   Parent Loop BB1_4 Depth=1
                                        ; =>  This Inner Loop Header: Depth=2
	v_add_nc_u32_e32 v4, s8, v6
	s_delay_alu instid0(VALU_DEP_1) | instskip(SKIP_1) | instid1(VALU_DEP_1)
	v_cndmask_b32_e64 v3, v4, v0, s0
	v_cndmask_b32_e64 v18, v0, v4, s0
	v_cmp_gt_i32_e64 s2, v3, v18
	v_mov_b32_e32 v18, 0
	s_delay_alu instid0(VALU_DEP_2) | instskip(SKIP_1) | instid1(VALU_DEP_1)
	v_cndmask_b32_e64 v3, v0, v4, s2
	v_cndmask_b32_e64 v4, v4, v0, s2
	v_max_i32_e32 v19, v3, v4
	s_delay_alu instid0(VALU_DEP_1) | instskip(SKIP_1) | instid1(VALU_DEP_2)
	v_cmp_gt_i32_e64 s2, s37, v19
	v_mov_b32_e32 v19, 0
	s_and_saveexec_b32 s9, s2
	s_cbranch_execz .LBB1_9
; %bb.8:                                ;   in Loop: Header=BB1_7 Depth=2
	v_ashrrev_i32_e32 v21, 31, v4
	v_mul_lo_u32 v22, v4, s23
	v_mad_u64_u32 v[19:20], null, v4, s22, 0
	s_delay_alu instid0(VALU_DEP_3) | instskip(NEXT) | instid1(VALU_DEP_1)
	v_mul_lo_u32 v4, v21, s22
	v_add3_u32 v20, v20, v22, v4
	v_ashrrev_i32_e32 v4, 31, v3
	s_delay_alu instid0(VALU_DEP_2) | instskip(NEXT) | instid1(VALU_DEP_2)
	v_lshlrev_b64 v[19:20], 2, v[19:20]
	v_lshlrev_b64 v[3:4], 2, v[3:4]
	s_delay_alu instid0(VALU_DEP_2) | instskip(NEXT) | instid1(VALU_DEP_1)
	v_add_co_u32 v19, s2, s13, v19
	v_add_co_ci_u32_e64 v20, s2, s17, v20, s2
	s_delay_alu instid0(VALU_DEP_2) | instskip(NEXT) | instid1(VALU_DEP_1)
	v_add_co_u32 v3, s2, v19, v3
	v_add_co_ci_u32_e64 v4, s2, v20, v4, s2
	global_load_b32 v19, v[3:4], off
.LBB1_9:                                ;   in Loop: Header=BB1_7 Depth=2
	s_or_b32 exec_lo, exec_lo, s9
	v_add_nc_u32_e32 v3, s8, v5
	s_waitcnt vmcnt(0)
	ds_store_b32 v9, v19
	v_cmp_gt_i32_e64 s2, s37, v3
	s_delay_alu instid0(VALU_DEP_1) | instskip(NEXT) | instid1(SALU_CYCLE_1)
	s_and_b32 s2, s2, vcc_lo
	s_and_saveexec_b32 s9, s2
	s_cbranch_execz .LBB1_11
; %bb.10:                               ;   in Loop: Header=BB1_7 Depth=2
	v_ashrrev_i32_e32 v4, 31, v3
	s_delay_alu instid0(VALU_DEP_1) | instskip(NEXT) | instid1(VALU_DEP_1)
	v_lshlrev_b64 v[3:4], 2, v[3:4]
	v_add_co_u32 v3, s2, v16, v3
	s_delay_alu instid0(VALU_DEP_1)
	v_add_co_ci_u32_e64 v4, s2, v17, v4, s2
	global_load_b32 v18, v[3:4], off
.LBB1_11:                               ;   in Loop: Header=BB1_7 Depth=2
	s_or_b32 exec_lo, exec_lo, s9
	s_waitcnt vmcnt(0)
	ds_store_b32 v10, v18
	s_waitcnt lgkmcnt(0)
	s_barrier
	buffer_gl0_inv
	s_and_saveexec_b32 s2, s7
	s_cbranch_execz .LBB1_6
; %bb.12:                               ;   in Loop: Header=BB1_7 Depth=2
	global_load_b32 v30, v[1:2], off
	ds_load_2addr_b32 v[3:4], v8 offset1:32
	ds_load_b128 v[18:21], v7
	ds_load_2addr_b32 v[26:27], v8 offset0:64 offset1:96
	ds_load_b128 v[22:25], v7 offset:16
	ds_load_2addr_b32 v[28:29], v8 offset0:128 offset1:160
	s_waitcnt lgkmcnt(3)
	v_fma_f32 v31, v18, v3, 0
	s_delay_alu instid0(VALU_DEP_1) | instskip(SKIP_3) | instid1(VALU_DEP_1)
	v_fmac_f32_e32 v31, v19, v4
	ds_load_2addr_b32 v[3:4], v8 offset0:192 offset1:224
	s_waitcnt lgkmcnt(3)
	v_fmac_f32_e32 v31, v20, v26
	v_fmac_f32_e32 v31, v21, v27
	ds_load_2addr_b32 v[26:27], v13 offset1:32
	ds_load_b128 v[18:21], v7 offset:32
	s_waitcnt lgkmcnt(3)
	v_fmac_f32_e32 v31, v22, v28
	s_delay_alu instid0(VALU_DEP_1) | instskip(SKIP_3) | instid1(VALU_DEP_1)
	v_fmac_f32_e32 v31, v23, v29
	ds_load_2addr_b32 v[28:29], v13 offset0:64 offset1:96
	s_waitcnt lgkmcnt(3)
	v_fmac_f32_e32 v31, v24, v3
	v_fmac_f32_e32 v31, v25, v4
	ds_load_b128 v[22:25], v7 offset:48
	ds_load_2addr_b32 v[3:4], v13 offset0:128 offset1:160
	s_waitcnt lgkmcnt(3)
	v_fmac_f32_e32 v31, v18, v26
	s_delay_alu instid0(VALU_DEP_1) | instskip(SKIP_3) | instid1(VALU_DEP_1)
	v_fmac_f32_e32 v31, v19, v27
	ds_load_2addr_b32 v[26:27], v13 offset0:192 offset1:224
	s_waitcnt lgkmcnt(3)
	v_fmac_f32_e32 v31, v20, v28
	v_fmac_f32_e32 v31, v21, v29
	ds_load_2addr_b32 v[28:29], v14 offset1:32
	ds_load_b128 v[18:21], v7 offset:64
	s_waitcnt lgkmcnt(3)
	v_fmac_f32_e32 v31, v22, v3
	s_delay_alu instid0(VALU_DEP_1) | instskip(SKIP_3) | instid1(VALU_DEP_1)
	v_fmac_f32_e32 v31, v23, v4
	ds_load_2addr_b32 v[3:4], v14 offset0:64 offset1:96
	s_waitcnt lgkmcnt(3)
	v_fmac_f32_e32 v31, v24, v26
	v_fmac_f32_e32 v31, v25, v27
	ds_load_b128 v[22:25], v7 offset:80
	ds_load_2addr_b32 v[26:27], v14 offset0:128 offset1:160
	s_waitcnt lgkmcnt(3)
	v_fmac_f32_e32 v31, v18, v28
	;; [unrolled: 20-line block ×3, first 2 shown]
	s_delay_alu instid0(VALU_DEP_1) | instskip(SKIP_3) | instid1(VALU_DEP_1)
	v_fmac_f32_e32 v31, v19, v4
	ds_load_2addr_b32 v[3:4], v15 offset0:192 offset1:224
	s_waitcnt lgkmcnt(3)
	v_fmac_f32_e32 v31, v20, v26
	v_fmac_f32_e32 v31, v21, v27
	s_waitcnt lgkmcnt(1)
	s_delay_alu instid0(VALU_DEP_1) | instskip(NEXT) | instid1(VALU_DEP_1)
	v_fmac_f32_e32 v31, v22, v28
	v_fmac_f32_e32 v31, v23, v29
	s_waitcnt lgkmcnt(0)
	s_delay_alu instid0(VALU_DEP_1) | instskip(NEXT) | instid1(VALU_DEP_1)
	v_fmac_f32_e32 v31, v24, v3
	v_fmac_f32_e32 v31, v25, v4
	s_waitcnt vmcnt(0)
	s_delay_alu instid0(VALU_DEP_1)
	v_fmac_f32_e32 v30, s3, v31
	global_store_b32 v[1:2], v30, off
	s_branch .LBB1_6
.LBB1_13:
	s_endpgm
	.section	.rodata,"a",@progbits
	.p2align	6, 0x0
	.amdhsa_kernel _ZL24rocblas_symm_hemm_kernelILb0ELb0ELi32EPKfS1_PfEvbiiT2_T3_lllS4_lllT4_llli
		.amdhsa_group_segment_fixed_size 8192
		.amdhsa_private_segment_fixed_size 0
		.amdhsa_kernarg_size 384
		.amdhsa_user_sgpr_count 13
		.amdhsa_user_sgpr_dispatch_ptr 0
		.amdhsa_user_sgpr_queue_ptr 0
		.amdhsa_user_sgpr_kernarg_segment_ptr 1
		.amdhsa_user_sgpr_dispatch_id 0
		.amdhsa_user_sgpr_private_segment_size 0
		.amdhsa_wavefront_size32 1
		.amdhsa_uses_dynamic_stack 0
		.amdhsa_enable_private_segment 0
		.amdhsa_system_sgpr_workgroup_id_x 1
		.amdhsa_system_sgpr_workgroup_id_y 1
		.amdhsa_system_sgpr_workgroup_id_z 1
		.amdhsa_system_sgpr_workgroup_info 0
		.amdhsa_system_vgpr_workitem_id 1
		.amdhsa_next_free_vgpr 32
		.amdhsa_next_free_sgpr 40
		.amdhsa_reserve_vcc 1
		.amdhsa_float_round_mode_32 0
		.amdhsa_float_round_mode_16_64 0
		.amdhsa_float_denorm_mode_32 3
		.amdhsa_float_denorm_mode_16_64 3
		.amdhsa_dx10_clamp 1
		.amdhsa_ieee_mode 1
		.amdhsa_fp16_overflow 0
		.amdhsa_workgroup_processor_mode 1
		.amdhsa_memory_ordered 1
		.amdhsa_forward_progress 0
		.amdhsa_shared_vgpr_count 0
		.amdhsa_exception_fp_ieee_invalid_op 0
		.amdhsa_exception_fp_denorm_src 0
		.amdhsa_exception_fp_ieee_div_zero 0
		.amdhsa_exception_fp_ieee_overflow 0
		.amdhsa_exception_fp_ieee_underflow 0
		.amdhsa_exception_fp_ieee_inexact 0
		.amdhsa_exception_int_div_zero 0
	.end_amdhsa_kernel
	.section	.text._ZL24rocblas_symm_hemm_kernelILb0ELb0ELi32EPKfS1_PfEvbiiT2_T3_lllS4_lllT4_llli,"axG",@progbits,_ZL24rocblas_symm_hemm_kernelILb0ELb0ELi32EPKfS1_PfEvbiiT2_T3_lllS4_lllT4_llli,comdat
.Lfunc_end1:
	.size	_ZL24rocblas_symm_hemm_kernelILb0ELb0ELi32EPKfS1_PfEvbiiT2_T3_lllS4_lllT4_llli, .Lfunc_end1-_ZL24rocblas_symm_hemm_kernelILb0ELb0ELi32EPKfS1_PfEvbiiT2_T3_lllS4_lllT4_llli
                                        ; -- End function
	.section	.AMDGPU.csdata,"",@progbits
; Kernel info:
; codeLenInByte = 1368
; NumSgprs: 42
; NumVgprs: 32
; ScratchSize: 0
; MemoryBound: 0
; FloatMode: 240
; IeeeMode: 1
; LDSByteSize: 8192 bytes/workgroup (compile time only)
; SGPRBlocks: 5
; VGPRBlocks: 3
; NumSGPRsForWavesPerEU: 42
; NumVGPRsForWavesPerEU: 32
; Occupancy: 16
; WaveLimiterHint : 0
; COMPUTE_PGM_RSRC2:SCRATCH_EN: 0
; COMPUTE_PGM_RSRC2:USER_SGPR: 13
; COMPUTE_PGM_RSRC2:TRAP_HANDLER: 0
; COMPUTE_PGM_RSRC2:TGID_X_EN: 1
; COMPUTE_PGM_RSRC2:TGID_Y_EN: 1
; COMPUTE_PGM_RSRC2:TGID_Z_EN: 1
; COMPUTE_PGM_RSRC2:TIDIG_COMP_CNT: 1
	.section	.text._ZL24rocblas_symm_hemm_kernelILb0ELb1ELi32EPKfS1_PfEvbiiT2_T3_lllS4_lllT4_llli,"axG",@progbits,_ZL24rocblas_symm_hemm_kernelILb0ELb1ELi32EPKfS1_PfEvbiiT2_T3_lllS4_lllT4_llli,comdat
	.globl	_ZL24rocblas_symm_hemm_kernelILb0ELb1ELi32EPKfS1_PfEvbiiT2_T3_lllS4_lllT4_llli ; -- Begin function _ZL24rocblas_symm_hemm_kernelILb0ELb1ELi32EPKfS1_PfEvbiiT2_T3_lllS4_lllT4_llli
	.p2align	8
	.type	_ZL24rocblas_symm_hemm_kernelILb0ELb1ELi32EPKfS1_PfEvbiiT2_T3_lllS4_lllT4_llli,@function
_ZL24rocblas_symm_hemm_kernelILb0ELb1ELi32EPKfS1_PfEvbiiT2_T3_lllS4_lllT4_llli: ; @_ZL24rocblas_symm_hemm_kernelILb0ELb1ELi32EPKfS1_PfEvbiiT2_T3_lllS4_lllT4_llli
; %bb.0:
	s_load_b512 s[16:31], s[0:1], 0x10
	s_waitcnt lgkmcnt(0)
	s_load_b32 s3, s[16:17], 0x0
	s_waitcnt lgkmcnt(0)
	v_cmp_eq_f32_e64 s2, s3, 0
	s_delay_alu instid0(VALU_DEP_1)
	s_and_b32 vcc_lo, exec_lo, s2
	s_cbranch_vccnz .LBB2_13
; %bb.1:
	s_load_b128 s[36:39], s[0:1], 0x0
	s_waitcnt lgkmcnt(0)
	s_add_i32 s2, s38, -1
	s_delay_alu instid0(SALU_CYCLE_1) | instskip(NEXT) | instid1(SALU_CYCLE_1)
	s_ashr_i32 s4, s2, 31
	s_lshr_b32 s4, s4, 27
	s_delay_alu instid0(SALU_CYCLE_1) | instskip(NEXT) | instid1(SALU_CYCLE_1)
	s_add_i32 s2, s2, s4
	s_ashr_i32 s12, s2, 5
	s_delay_alu instid0(SALU_CYCLE_1)
	s_cmp_gt_i32 s14, s12
	s_cbranch_scc1 .LBB2_13
; %bb.2:
	s_clause 0x1
	s_load_b64 s[34:35], s[0:1], 0x70
	s_load_b256 s[4:11], s[0:1], 0x50
	s_mul_i32 s2, s15, s25
	s_mul_hi_u32 s17, s15, s24
	s_mul_i32 s16, s15, s24
	s_add_i32 s17, s17, s2
	v_and_b32_e32 v4, 0x3ff, v0
	s_lshl_b64 s[16:17], s[16:17], 2
	v_bfe_u32 v5, v0, 10, 10
	s_add_u32 s2, s18, s16
	s_load_b32 s16, s[0:1], 0x84
	s_addc_u32 s24, s19, s17
	s_lshl_b64 s[18:19], s[20:21], 2
	v_lshl_add_u32 v1, s13, 5, v4
	s_add_u32 s17, s2, s18
	s_addc_u32 s18, s24, s19
	s_bitcmp1_b32 s36, 0
	v_lshlrev_b32_e32 v0, 2, v5
	s_cselect_b32 s0, -1, 0
	v_ashrrev_i32_e32 v2, 31, v1
	s_waitcnt lgkmcnt(0)
	s_mul_i32 s1, s15, s35
	s_mul_hi_u32 s2, s15, s34
	s_mul_i32 s20, s15, s34
	s_add_i32 s21, s2, s1
	s_mul_i32 s1, s15, s5
	s_lshl_b64 s[20:21], s[20:21], 2
	s_mul_hi_u32 s2, s15, s4
	s_add_u32 s5, s6, s20
	s_addc_u32 s13, s7, s21
	s_lshl_b64 s[6:7], s[8:9], 2
	s_mul_i32 s4, s15, s4
	s_add_u32 s6, s5, s6
	s_addc_u32 s7, s13, s7
	s_add_i32 s5, s2, s1
	v_lshlrev_b64 v[2:3], 2, v[1:2]
	s_lshl_b64 s[4:5], s[4:5], 2
	v_lshlrev_b32_e32 v6, 7, v4
	s_add_u32 s1, s26, s4
	s_addc_u32 s2, s27, s5
	s_lshl_b64 s[4:5], s[28:29], 2
	v_or_b32_e32 v7, 0x1000, v0
	s_add_u32 s4, s1, s4
	s_addc_u32 s2, s2, s5
	v_add_co_u32 v8, vcc_lo, s4, v2
	v_add_co_ci_u32_e32 v9, vcc_lo, s2, v3, vcc_lo
	v_add_co_u32 v12, vcc_lo, s6, v2
	v_cmp_gt_i32_e64 s1, s37, v1
	v_add_nc_u32_e32 v10, v6, v0
	v_add_nc_u32_e32 v11, v7, v6
	v_add_co_ci_u32_e32 v13, vcc_lo, s7, v3, vcc_lo
	v_add_nc_u32_e32 v14, 0x400, v7
	v_add_nc_u32_e32 v15, 0x800, v7
	;; [unrolled: 1-line block ×3, first 2 shown]
	s_cmp_gt_i32 s38, 0
	s_cselect_b32 s4, -1, 0
	s_branch .LBB2_4
.LBB2_3:                                ;   in Loop: Header=BB2_4 Depth=1
	s_add_i32 s14, s14, s16
	s_delay_alu instid0(SALU_CYCLE_1)
	s_cmp_gt_i32 s14, s12
	s_cbranch_scc1 .LBB2_13
.LBB2_4:                                ; =>This Loop Header: Depth=1
                                        ;     Child Loop BB2_7 Depth 2
	s_and_not1_b32 vcc_lo, exec_lo, s4
	s_cbranch_vccnz .LBB2_3
; %bb.5:                                ;   in Loop: Header=BB2_4 Depth=1
	v_lshl_add_u32 v17, s14, 5, v5
	s_mov_b32 s5, 0
	s_delay_alu instid0(VALU_DEP_1) | instskip(SKIP_3) | instid1(VALU_DEP_4)
	v_ashrrev_i32_e32 v2, 31, v17
	v_mul_lo_u32 v3, v17, s11
	v_mad_u64_u32 v[0:1], null, v17, s10, 0
	v_cmp_gt_i32_e32 vcc_lo, s38, v17
	v_mul_lo_u32 v2, v2, s10
	s_delay_alu instid0(VALU_DEP_1) | instskip(NEXT) | instid1(VALU_DEP_1)
	v_add3_u32 v1, v1, v3, v2
	v_lshlrev_b64 v[0:1], 2, v[0:1]
	s_delay_alu instid0(VALU_DEP_1) | instskip(NEXT) | instid1(VALU_DEP_1)
	v_add_co_u32 v0, s2, v12, v0
	v_add_co_ci_u32_e64 v1, s2, v13, v1, s2
	s_and_b32 s2, s1, vcc_lo
	s_branch .LBB2_7
.LBB2_6:                                ;   in Loop: Header=BB2_7 Depth=2
	s_or_b32 exec_lo, exec_lo, s6
	s_add_i32 s5, s5, 32
	s_waitcnt_vscnt null, 0x0
	s_cmp_ge_i32 s5, s38
	s_barrier
	buffer_gl0_inv
	s_cbranch_scc1 .LBB2_3
.LBB2_7:                                ;   Parent Loop BB2_4 Depth=1
                                        ; =>  This Inner Loop Header: Depth=2
	v_dual_mov_b32 v3, 0 :: v_dual_add_nc_u32 v2, s5, v5
	v_mov_b32_e32 v18, 0
	s_delay_alu instid0(VALU_DEP_2) | instskip(SKIP_1) | instid1(SALU_CYCLE_1)
	v_cmp_gt_i32_e32 vcc_lo, s38, v2
	s_and_b32 s7, s1, vcc_lo
	s_and_saveexec_b32 s6, s7
	s_cbranch_execz .LBB2_9
; %bb.8:                                ;   in Loop: Header=BB2_7 Depth=2
	v_ashrrev_i32_e32 v20, 31, v2
	v_mul_lo_u32 v21, v2, s31
	v_mad_u64_u32 v[18:19], null, v2, s30, 0
	s_delay_alu instid0(VALU_DEP_3) | instskip(NEXT) | instid1(VALU_DEP_1)
	v_mul_lo_u32 v2, v20, s30
	v_add3_u32 v19, v19, v21, v2
	s_delay_alu instid0(VALU_DEP_1) | instskip(NEXT) | instid1(VALU_DEP_1)
	v_lshlrev_b64 v[18:19], 2, v[18:19]
	v_add_co_u32 v18, vcc_lo, v8, v18
	s_delay_alu instid0(VALU_DEP_2)
	v_add_co_ci_u32_e32 v19, vcc_lo, v9, v19, vcc_lo
	global_load_b32 v18, v[18:19], off
.LBB2_9:                                ;   in Loop: Header=BB2_7 Depth=2
	s_or_b32 exec_lo, exec_lo, s6
	v_add_nc_u32_e32 v19, s5, v4
	s_mov_b32 s6, exec_lo
	s_waitcnt vmcnt(0)
	ds_store_b32 v10, v18
	v_cndmask_b32_e64 v2, v17, v19, s0
	v_cndmask_b32_e64 v20, v19, v17, s0
	s_delay_alu instid0(VALU_DEP_1) | instskip(SKIP_1) | instid1(VALU_DEP_1)
	v_cmp_gt_i32_e32 vcc_lo, v2, v20
	v_dual_cndmask_b32 v2, v19, v17 :: v_dual_cndmask_b32 v19, v17, v19
	v_max_i32_e32 v20, v2, v19
	s_delay_alu instid0(VALU_DEP_1)
	v_cmpx_gt_i32_e64 s38, v20
	s_cbranch_execz .LBB2_11
; %bb.10:                               ;   in Loop: Header=BB2_7 Depth=2
	v_ashrrev_i32_e32 v3, 31, v19
	v_mul_lo_u32 v18, v19, s23
	v_mad_u64_u32 v[20:21], null, v19, s22, 0
	s_delay_alu instid0(VALU_DEP_3) | instskip(NEXT) | instid1(VALU_DEP_1)
	v_mul_lo_u32 v3, v3, s22
	v_add3_u32 v21, v21, v18, v3
	v_ashrrev_i32_e32 v3, 31, v2
	s_delay_alu instid0(VALU_DEP_2) | instskip(NEXT) | instid1(VALU_DEP_2)
	v_lshlrev_b64 v[18:19], 2, v[20:21]
	v_lshlrev_b64 v[2:3], 2, v[2:3]
	s_delay_alu instid0(VALU_DEP_2) | instskip(NEXT) | instid1(VALU_DEP_3)
	v_add_co_u32 v18, vcc_lo, s17, v18
	v_add_co_ci_u32_e32 v19, vcc_lo, s18, v19, vcc_lo
	s_delay_alu instid0(VALU_DEP_2) | instskip(NEXT) | instid1(VALU_DEP_2)
	v_add_co_u32 v2, vcc_lo, v18, v2
	v_add_co_ci_u32_e32 v3, vcc_lo, v19, v3, vcc_lo
	global_load_b32 v3, v[2:3], off
.LBB2_11:                               ;   in Loop: Header=BB2_7 Depth=2
	s_or_b32 exec_lo, exec_lo, s6
	s_waitcnt vmcnt(0)
	ds_store_b32 v11, v3
	s_waitcnt lgkmcnt(0)
	s_barrier
	buffer_gl0_inv
	s_and_saveexec_b32 s6, s2
	s_cbranch_execz .LBB2_6
; %bb.12:                               ;   in Loop: Header=BB2_7 Depth=2
	global_load_b32 v30, v[0:1], off
	ds_load_2addr_b32 v[2:3], v7 offset1:32
	ds_load_b128 v[18:21], v6
	ds_load_2addr_b32 v[26:27], v7 offset0:64 offset1:96
	ds_load_b128 v[22:25], v6 offset:16
	ds_load_2addr_b32 v[28:29], v7 offset0:128 offset1:160
	s_waitcnt lgkmcnt(3)
	v_fma_f32 v31, v18, v2, 0
	s_delay_alu instid0(VALU_DEP_1) | instskip(SKIP_3) | instid1(VALU_DEP_1)
	v_fmac_f32_e32 v31, v19, v3
	ds_load_2addr_b32 v[2:3], v7 offset0:192 offset1:224
	s_waitcnt lgkmcnt(3)
	v_fmac_f32_e32 v31, v20, v26
	v_fmac_f32_e32 v31, v21, v27
	ds_load_2addr_b32 v[26:27], v14 offset1:32
	ds_load_b128 v[18:21], v6 offset:32
	s_waitcnt lgkmcnt(3)
	v_fmac_f32_e32 v31, v22, v28
	s_delay_alu instid0(VALU_DEP_1) | instskip(SKIP_3) | instid1(VALU_DEP_1)
	v_fmac_f32_e32 v31, v23, v29
	ds_load_2addr_b32 v[28:29], v14 offset0:64 offset1:96
	s_waitcnt lgkmcnt(3)
	v_fmac_f32_e32 v31, v24, v2
	v_fmac_f32_e32 v31, v25, v3
	ds_load_b128 v[22:25], v6 offset:48
	ds_load_2addr_b32 v[2:3], v14 offset0:128 offset1:160
	s_waitcnt lgkmcnt(3)
	v_fmac_f32_e32 v31, v18, v26
	s_delay_alu instid0(VALU_DEP_1) | instskip(SKIP_3) | instid1(VALU_DEP_1)
	v_fmac_f32_e32 v31, v19, v27
	ds_load_2addr_b32 v[26:27], v14 offset0:192 offset1:224
	s_waitcnt lgkmcnt(3)
	v_fmac_f32_e32 v31, v20, v28
	v_fmac_f32_e32 v31, v21, v29
	ds_load_2addr_b32 v[28:29], v15 offset1:32
	ds_load_b128 v[18:21], v6 offset:64
	s_waitcnt lgkmcnt(3)
	v_fmac_f32_e32 v31, v22, v2
	s_delay_alu instid0(VALU_DEP_1) | instskip(SKIP_3) | instid1(VALU_DEP_1)
	v_fmac_f32_e32 v31, v23, v3
	ds_load_2addr_b32 v[2:3], v15 offset0:64 offset1:96
	s_waitcnt lgkmcnt(3)
	v_fmac_f32_e32 v31, v24, v26
	v_fmac_f32_e32 v31, v25, v27
	ds_load_b128 v[22:25], v6 offset:80
	ds_load_2addr_b32 v[26:27], v15 offset0:128 offset1:160
	s_waitcnt lgkmcnt(3)
	v_fmac_f32_e32 v31, v18, v28
	;; [unrolled: 20-line block ×3, first 2 shown]
	s_delay_alu instid0(VALU_DEP_1) | instskip(SKIP_3) | instid1(VALU_DEP_1)
	v_fmac_f32_e32 v31, v19, v3
	ds_load_2addr_b32 v[2:3], v16 offset0:192 offset1:224
	s_waitcnt lgkmcnt(3)
	v_fmac_f32_e32 v31, v20, v26
	v_fmac_f32_e32 v31, v21, v27
	s_waitcnt lgkmcnt(1)
	s_delay_alu instid0(VALU_DEP_1) | instskip(NEXT) | instid1(VALU_DEP_1)
	v_fmac_f32_e32 v31, v22, v28
	v_fmac_f32_e32 v31, v23, v29
	s_waitcnt lgkmcnt(0)
	s_delay_alu instid0(VALU_DEP_1) | instskip(NEXT) | instid1(VALU_DEP_1)
	v_fmac_f32_e32 v31, v24, v2
	v_fmac_f32_e32 v31, v25, v3
	s_waitcnt vmcnt(0)
	s_delay_alu instid0(VALU_DEP_1)
	v_fmac_f32_e32 v30, s3, v31
	global_store_b32 v[0:1], v30, off
	s_branch .LBB2_6
.LBB2_13:
	s_endpgm
	.section	.rodata,"a",@progbits
	.p2align	6, 0x0
	.amdhsa_kernel _ZL24rocblas_symm_hemm_kernelILb0ELb1ELi32EPKfS1_PfEvbiiT2_T3_lllS4_lllT4_llli
		.amdhsa_group_segment_fixed_size 8192
		.amdhsa_private_segment_fixed_size 0
		.amdhsa_kernarg_size 384
		.amdhsa_user_sgpr_count 13
		.amdhsa_user_sgpr_dispatch_ptr 0
		.amdhsa_user_sgpr_queue_ptr 0
		.amdhsa_user_sgpr_kernarg_segment_ptr 1
		.amdhsa_user_sgpr_dispatch_id 0
		.amdhsa_user_sgpr_private_segment_size 0
		.amdhsa_wavefront_size32 1
		.amdhsa_uses_dynamic_stack 0
		.amdhsa_enable_private_segment 0
		.amdhsa_system_sgpr_workgroup_id_x 1
		.amdhsa_system_sgpr_workgroup_id_y 1
		.amdhsa_system_sgpr_workgroup_id_z 1
		.amdhsa_system_sgpr_workgroup_info 0
		.amdhsa_system_vgpr_workitem_id 1
		.amdhsa_next_free_vgpr 32
		.amdhsa_next_free_sgpr 40
		.amdhsa_reserve_vcc 1
		.amdhsa_float_round_mode_32 0
		.amdhsa_float_round_mode_16_64 0
		.amdhsa_float_denorm_mode_32 3
		.amdhsa_float_denorm_mode_16_64 3
		.amdhsa_dx10_clamp 1
		.amdhsa_ieee_mode 1
		.amdhsa_fp16_overflow 0
		.amdhsa_workgroup_processor_mode 1
		.amdhsa_memory_ordered 1
		.amdhsa_forward_progress 0
		.amdhsa_shared_vgpr_count 0
		.amdhsa_exception_fp_ieee_invalid_op 0
		.amdhsa_exception_fp_denorm_src 0
		.amdhsa_exception_fp_ieee_div_zero 0
		.amdhsa_exception_fp_ieee_overflow 0
		.amdhsa_exception_fp_ieee_underflow 0
		.amdhsa_exception_fp_ieee_inexact 0
		.amdhsa_exception_int_div_zero 0
	.end_amdhsa_kernel
	.section	.text._ZL24rocblas_symm_hemm_kernelILb0ELb1ELi32EPKfS1_PfEvbiiT2_T3_lllS4_lllT4_llli,"axG",@progbits,_ZL24rocblas_symm_hemm_kernelILb0ELb1ELi32EPKfS1_PfEvbiiT2_T3_lllS4_lllT4_llli,comdat
.Lfunc_end2:
	.size	_ZL24rocblas_symm_hemm_kernelILb0ELb1ELi32EPKfS1_PfEvbiiT2_T3_lllS4_lllT4_llli, .Lfunc_end2-_ZL24rocblas_symm_hemm_kernelILb0ELb1ELi32EPKfS1_PfEvbiiT2_T3_lllS4_lllT4_llli
                                        ; -- End function
	.section	.AMDGPU.csdata,"",@progbits
; Kernel info:
; codeLenInByte = 1324
; NumSgprs: 42
; NumVgprs: 32
; ScratchSize: 0
; MemoryBound: 0
; FloatMode: 240
; IeeeMode: 1
; LDSByteSize: 8192 bytes/workgroup (compile time only)
; SGPRBlocks: 5
; VGPRBlocks: 3
; NumSGPRsForWavesPerEU: 42
; NumVGPRsForWavesPerEU: 32
; Occupancy: 16
; WaveLimiterHint : 0
; COMPUTE_PGM_RSRC2:SCRATCH_EN: 0
; COMPUTE_PGM_RSRC2:USER_SGPR: 13
; COMPUTE_PGM_RSRC2:TRAP_HANDLER: 0
; COMPUTE_PGM_RSRC2:TGID_X_EN: 1
; COMPUTE_PGM_RSRC2:TGID_Y_EN: 1
; COMPUTE_PGM_RSRC2:TGID_Z_EN: 1
; COMPUTE_PGM_RSRC2:TIDIG_COMP_CNT: 1
	.section	.text._ZL25rocblas_symm_scale_kernelILi128ELi8EfPfEviiT1_T2_llli,"axG",@progbits,_ZL25rocblas_symm_scale_kernelILi128ELi8EfPfEviiT1_T2_llli,comdat
	.globl	_ZL25rocblas_symm_scale_kernelILi128ELi8EfPfEviiT1_T2_llli ; -- Begin function _ZL25rocblas_symm_scale_kernelILi128ELi8EfPfEviiT1_T2_llli
	.p2align	8
	.type	_ZL25rocblas_symm_scale_kernelILi128ELi8EfPfEviiT1_T2_llli,@function
_ZL25rocblas_symm_scale_kernelILi128ELi8EfPfEviiT1_T2_llli: ; @_ZL25rocblas_symm_scale_kernelILi128ELi8EfPfEviiT1_T2_llli
; %bb.0:
	s_load_b128 s[16:19], s[0:1], 0x0
	s_waitcnt lgkmcnt(0)
	v_cmp_eq_f32_e64 s2, s18, 1.0
	s_delay_alu instid0(VALU_DEP_1)
	s_and_b32 vcc_lo, exec_lo, s2
	s_cbranch_vccnz .LBB3_7
; %bb.1:
	v_bfe_u32 v1, v0, 10, 10
	v_and_b32_e32 v2, 0x3ff, v0
	s_mov_b32 s12, s17
	s_delay_alu instid0(VALU_DEP_2) | instskip(SKIP_1) | instid1(VALU_DEP_3)
	v_lshl_add_u32 v0, s14, 3, v1
	v_mov_b32_e32 v1, 0
	v_lshl_add_u32 v2, s13, 7, v2
	s_ashr_i32 s13, s17, 31
	s_delay_alu instid0(VALU_DEP_2) | instid1(SALU_CYCLE_1)
	v_cmp_gt_i64_e32 vcc_lo, s[12:13], v[0:1]
	s_delay_alu instid0(VALU_DEP_2) | instskip(NEXT) | instid1(VALU_DEP_1)
	v_cmp_gt_u32_e64 s2, s16, v2
	s_and_b32 s2, s2, vcc_lo
	s_delay_alu instid0(SALU_CYCLE_1)
	s_and_saveexec_b32 s3, s2
	s_cbranch_execz .LBB3_7
; %bb.2:
	s_clause 0x1
	s_load_b256 s[4:11], s[0:1], 0x10
	s_load_b32 s0, s[0:1], 0x3c
	v_mov_b32_e32 v3, v1
	s_delay_alu instid0(VALU_DEP_1)
	v_lshlrev_b64 v[2:3], 2, v[2:3]
	s_waitcnt lgkmcnt(0)
	v_mad_u64_u32 v[4:5], null, s8, v0, 0
	s_lshl_b32 s1, s0, 3
	s_mul_i32 s0, s11, s15
	s_mul_hi_u32 s3, s10, s15
	s_mul_i32 s2, s10, s15
	s_add_i32 s3, s3, s0
	s_lshl_b64 s[6:7], s[6:7], 2
	s_delay_alu instid0(VALU_DEP_1) | instskip(SKIP_4) | instid1(VALU_DEP_1)
	v_mad_u64_u32 v[6:7], null, s9, v0, v[5:6]
	s_lshl_b64 s[2:3], s[2:3], 2
	s_mul_i32 s0, s9, s1
	s_add_u32 s2, s6, s2
	s_addc_u32 s3, s7, s3
	v_mov_b32_e32 v5, v6
	s_delay_alu instid0(VALU_DEP_1) | instskip(NEXT) | instid1(VALU_DEP_1)
	v_lshlrev_b64 v[4:5], 2, v[4:5]
	v_add_co_u32 v4, vcc_lo, s2, v4
	s_delay_alu instid0(VALU_DEP_2) | instskip(SKIP_1) | instid1(VALU_DEP_2)
	v_add_co_ci_u32_e32 v5, vcc_lo, s3, v5, vcc_lo
	s_mul_hi_u32 s2, s8, s1
	v_add_co_u32 v2, vcc_lo, v4, v2
	s_delay_alu instid0(VALU_DEP_2) | instskip(SKIP_1) | instid1(VALU_DEP_2)
	v_add_co_ci_u32_e32 v3, vcc_lo, v5, v3, vcc_lo
	s_add_i32 s3, s2, s0
	v_add_co_u32 v2, vcc_lo, s4, v2
	s_delay_alu instid0(VALU_DEP_2)
	v_add_co_ci_u32_e32 v3, vcc_lo, s5, v3, vcc_lo
	v_cmp_neq_f32_e64 s4, s18, 0
	s_mul_i32 s2, s8, s1
	s_mov_b32 s5, 0
	s_lshl_b64 s[2:3], s[2:3], 2
	s_branch .LBB3_5
	.p2align	6
.LBB3_3:                                ;   in Loop: Header=BB3_5 Depth=1
	global_load_b32 v4, v[2:3], off
	s_waitcnt vmcnt(0)
	v_mul_f32_e32 v4, s18, v4
.LBB3_4:                                ;   in Loop: Header=BB3_5 Depth=1
	v_add_co_u32 v0, vcc_lo, v0, s1
	v_add_co_ci_u32_e32 v1, vcc_lo, 0, v1, vcc_lo
	global_store_b32 v[2:3], v4, off
	v_add_co_u32 v2, s0, v2, s2
	v_cmp_le_i64_e32 vcc_lo, s[12:13], v[0:1]
	v_add_co_ci_u32_e64 v3, s0, s3, v3, s0
	s_or_b32 s5, vcc_lo, s5
	s_delay_alu instid0(SALU_CYCLE_1)
	s_and_not1_b32 exec_lo, exec_lo, s5
	s_cbranch_execz .LBB3_7
.LBB3_5:                                ; =>This Inner Loop Header: Depth=1
	s_and_not1_b32 vcc_lo, exec_lo, s4
	s_cbranch_vccz .LBB3_3
; %bb.6:                                ;   in Loop: Header=BB3_5 Depth=1
	v_mov_b32_e32 v4, 0
	s_branch .LBB3_4
.LBB3_7:
	s_nop 0
	s_sendmsg sendmsg(MSG_DEALLOC_VGPRS)
	s_endpgm
	.section	.rodata,"a",@progbits
	.p2align	6, 0x0
	.amdhsa_kernel _ZL25rocblas_symm_scale_kernelILi128ELi8EfPfEviiT1_T2_llli
		.amdhsa_group_segment_fixed_size 0
		.amdhsa_private_segment_fixed_size 0
		.amdhsa_kernarg_size 312
		.amdhsa_user_sgpr_count 13
		.amdhsa_user_sgpr_dispatch_ptr 0
		.amdhsa_user_sgpr_queue_ptr 0
		.amdhsa_user_sgpr_kernarg_segment_ptr 1
		.amdhsa_user_sgpr_dispatch_id 0
		.amdhsa_user_sgpr_private_segment_size 0
		.amdhsa_wavefront_size32 1
		.amdhsa_uses_dynamic_stack 0
		.amdhsa_enable_private_segment 0
		.amdhsa_system_sgpr_workgroup_id_x 1
		.amdhsa_system_sgpr_workgroup_id_y 1
		.amdhsa_system_sgpr_workgroup_id_z 1
		.amdhsa_system_sgpr_workgroup_info 0
		.amdhsa_system_vgpr_workitem_id 1
		.amdhsa_next_free_vgpr 8
		.amdhsa_next_free_sgpr 20
		.amdhsa_reserve_vcc 1
		.amdhsa_float_round_mode_32 0
		.amdhsa_float_round_mode_16_64 0
		.amdhsa_float_denorm_mode_32 3
		.amdhsa_float_denorm_mode_16_64 3
		.amdhsa_dx10_clamp 1
		.amdhsa_ieee_mode 1
		.amdhsa_fp16_overflow 0
		.amdhsa_workgroup_processor_mode 1
		.amdhsa_memory_ordered 1
		.amdhsa_forward_progress 0
		.amdhsa_shared_vgpr_count 0
		.amdhsa_exception_fp_ieee_invalid_op 0
		.amdhsa_exception_fp_denorm_src 0
		.amdhsa_exception_fp_ieee_div_zero 0
		.amdhsa_exception_fp_ieee_overflow 0
		.amdhsa_exception_fp_ieee_underflow 0
		.amdhsa_exception_fp_ieee_inexact 0
		.amdhsa_exception_int_div_zero 0
	.end_amdhsa_kernel
	.section	.text._ZL25rocblas_symm_scale_kernelILi128ELi8EfPfEviiT1_T2_llli,"axG",@progbits,_ZL25rocblas_symm_scale_kernelILi128ELi8EfPfEviiT1_T2_llli,comdat
.Lfunc_end3:
	.size	_ZL25rocblas_symm_scale_kernelILi128ELi8EfPfEviiT1_T2_llli, .Lfunc_end3-_ZL25rocblas_symm_scale_kernelILi128ELi8EfPfEviiT1_T2_llli
                                        ; -- End function
	.section	.AMDGPU.csdata,"",@progbits
; Kernel info:
; codeLenInByte = 412
; NumSgprs: 22
; NumVgprs: 8
; ScratchSize: 0
; MemoryBound: 0
; FloatMode: 240
; IeeeMode: 1
; LDSByteSize: 0 bytes/workgroup (compile time only)
; SGPRBlocks: 2
; VGPRBlocks: 0
; NumSGPRsForWavesPerEU: 22
; NumVGPRsForWavesPerEU: 8
; Occupancy: 16
; WaveLimiterHint : 0
; COMPUTE_PGM_RSRC2:SCRATCH_EN: 0
; COMPUTE_PGM_RSRC2:USER_SGPR: 13
; COMPUTE_PGM_RSRC2:TRAP_HANDLER: 0
; COMPUTE_PGM_RSRC2:TGID_X_EN: 1
; COMPUTE_PGM_RSRC2:TGID_Y_EN: 1
; COMPUTE_PGM_RSRC2:TGID_Z_EN: 1
; COMPUTE_PGM_RSRC2:TIDIG_COMP_CNT: 1
	.section	.text._ZL24rocblas_symm_hemm_kernelILb0ELb0ELi32EfPKfPfEvbiiT2_T3_lllS4_lllT4_llli,"axG",@progbits,_ZL24rocblas_symm_hemm_kernelILb0ELb0ELi32EfPKfPfEvbiiT2_T3_lllS4_lllT4_llli,comdat
	.globl	_ZL24rocblas_symm_hemm_kernelILb0ELb0ELi32EfPKfPfEvbiiT2_T3_lllS4_lllT4_llli ; -- Begin function _ZL24rocblas_symm_hemm_kernelILb0ELb0ELi32EfPKfPfEvbiiT2_T3_lllS4_lllT4_llli
	.p2align	8
	.type	_ZL24rocblas_symm_hemm_kernelILb0ELb0ELi32EfPKfPfEvbiiT2_T3_lllS4_lllT4_llli,@function
_ZL24rocblas_symm_hemm_kernelILb0ELb0ELi32EfPKfPfEvbiiT2_T3_lllS4_lllT4_llli: ; @_ZL24rocblas_symm_hemm_kernelILb0ELb0ELi32EfPKfPfEvbiiT2_T3_lllS4_lllT4_llli
; %bb.0:
	s_load_b128 s[36:39], s[0:1], 0x0
	s_waitcnt lgkmcnt(0)
	v_cmp_eq_f32_e64 s2, s39, 0
	s_delay_alu instid0(VALU_DEP_1)
	s_and_b32 vcc_lo, exec_lo, s2
	s_cbranch_vccnz .LBB4_13
; %bb.1:
	s_add_i32 s2, s38, -1
	s_delay_alu instid0(SALU_CYCLE_1) | instskip(NEXT) | instid1(SALU_CYCLE_1)
	s_ashr_i32 s3, s2, 31
	s_lshr_b32 s3, s3, 27
	s_delay_alu instid0(SALU_CYCLE_1) | instskip(NEXT) | instid1(SALU_CYCLE_1)
	s_add_i32 s2, s2, s3
	s_ashr_i32 s3, s2, 5
	s_delay_alu instid0(SALU_CYCLE_1)
	s_cmp_gt_i32 s14, s3
	s_cbranch_scc1 .LBB4_13
; %bb.2:
	s_clause 0x2
	s_load_b512 s[16:31], s[0:1], 0x10
	s_load_b256 s[4:11], s[0:1], 0x50
	s_load_b32 s12, s[0:1], 0x7c
	v_and_b32_e32 v6, 0x3ff, v0
	v_bfe_u32 v5, v0, 10, 10
	s_delay_alu instid0(VALU_DEP_2) | instskip(NEXT) | instid1(VALU_DEP_2)
	v_lshl_add_u32 v0, s13, 5, v6
	v_lshlrev_b32_e32 v1, 2, v5
	v_lshlrev_b32_e32 v7, 7, v6
	s_delay_alu instid0(VALU_DEP_2) | instskip(NEXT) | instid1(VALU_DEP_2)
	v_or_b32_e32 v9, 0x1000, v1
	v_add_nc_u32_e32 v8, v7, v1
	v_ashrrev_i32_e32 v1, 31, v0
	s_delay_alu instid0(VALU_DEP_3)
	v_add_nc_u32_e32 v10, v9, v7
	v_add_nc_u32_e32 v13, 0x400, v9
	s_waitcnt lgkmcnt(0)
	s_mul_i32 s1, s15, s23
	s_mul_hi_u32 s2, s15, s22
	s_mul_i32 s0, s15, s22
	s_add_i32 s1, s2, s1
	s_mul_i32 s2, s15, s31
	s_lshl_b64 s[0:1], s[0:1], 2
	s_mul_hi_u32 s22, s15, s30
	s_add_u32 s13, s16, s0
	s_addc_u32 s16, s17, s1
	s_lshl_b64 s[0:1], s[18:19], 2
	s_mul_i32 s18, s15, s30
	s_add_u32 s13, s13, s0
	s_addc_u32 s16, s16, s1
	s_add_i32 s19, s22, s2
	s_mul_i32 s2, s15, s11
	s_lshl_b64 s[0:1], s[18:19], 2
	s_mul_hi_u32 s19, s15, s10
	s_add_u32 s11, s24, s0
	s_addc_u32 s17, s25, s1
	s_lshl_b64 s[0:1], s[26:27], 2
	s_mul_i32 s18, s15, s10
	s_add_u32 s11, s11, s0
	s_addc_u32 s17, s17, s1
	s_bitcmp1_b32 s36, 0
	v_lshlrev_b64 v[1:2], 2, v[0:1]
	s_cselect_b32 s0, -1, 0
	s_add_i32 s19, s19, s2
	v_cmp_gt_i32_e64 s1, s37, v0
	s_lshl_b64 s[18:19], s[18:19], 2
	v_add_nc_u32_e32 v14, 0x800, v9
	s_add_u32 s2, s4, s18
	s_addc_u32 s10, s5, s19
	s_lshl_b64 s[4:5], s[6:7], 2
	v_add_nc_u32_e32 v15, 0xc00, v9
	s_add_u32 s2, s2, s4
	s_addc_u32 s4, s10, s5
	v_add_co_u32 v11, vcc_lo, s2, v1
	v_add_co_ci_u32_e32 v12, vcc_lo, s4, v2, vcc_lo
	s_cmp_gt_i32 s37, 0
	s_cselect_b32 s4, -1, 0
	s_branch .LBB4_4
.LBB4_3:                                ;   in Loop: Header=BB4_4 Depth=1
	s_add_i32 s14, s14, s12
	s_delay_alu instid0(SALU_CYCLE_1)
	s_cmp_gt_i32 s14, s3
	s_cbranch_scc1 .LBB4_13
.LBB4_4:                                ; =>This Loop Header: Depth=1
                                        ;     Child Loop BB4_7 Depth 2
	s_and_not1_b32 vcc_lo, exec_lo, s4
	s_cbranch_vccnz .LBB4_3
; %bb.5:                                ;   in Loop: Header=BB4_4 Depth=1
	v_lshl_add_u32 v16, s14, 5, v5
	s_mov_b32 s6, 0
	s_delay_alu instid0(VALU_DEP_1) | instskip(SKIP_3) | instid1(VALU_DEP_4)
	v_ashrrev_i32_e32 v17, 31, v16
	v_mul_lo_u32 v18, v16, s29
	v_mad_u64_u32 v[1:2], null, v16, s28, 0
	v_mul_lo_u32 v20, v16, s9
	v_mul_lo_u32 v19, v17, s28
	v_mad_u64_u32 v[3:4], null, v16, s8, 0
	v_mul_lo_u32 v17, v17, s8
	v_cmp_gt_i32_e32 vcc_lo, s38, v16
	s_delay_alu instid0(VALU_DEP_4) | instskip(SKIP_1) | instid1(VALU_DEP_3)
	v_add3_u32 v2, v2, v18, v19
	s_and_b32 s5, s1, vcc_lo
	v_add3_u32 v4, v4, v20, v17
	s_delay_alu instid0(VALU_DEP_2) | instskip(NEXT) | instid1(VALU_DEP_2)
	v_lshlrev_b64 v[1:2], 2, v[1:2]
	v_lshlrev_b64 v[3:4], 2, v[3:4]
	s_delay_alu instid0(VALU_DEP_2) | instskip(NEXT) | instid1(VALU_DEP_1)
	v_add_co_u32 v16, s2, s11, v1
	v_add_co_ci_u32_e64 v17, s2, s17, v2, s2
	s_delay_alu instid0(VALU_DEP_3) | instskip(NEXT) | instid1(VALU_DEP_1)
	v_add_co_u32 v1, s2, v11, v3
	v_add_co_ci_u32_e64 v2, s2, v12, v4, s2
	s_branch .LBB4_7
.LBB4_6:                                ;   in Loop: Header=BB4_7 Depth=2
	s_or_b32 exec_lo, exec_lo, s2
	s_add_i32 s6, s6, 32
	s_waitcnt_vscnt null, 0x0
	s_cmp_ge_i32 s6, s37
	s_barrier
	buffer_gl0_inv
	s_cbranch_scc1 .LBB4_3
.LBB4_7:                                ;   Parent Loop BB4_4 Depth=1
                                        ; =>  This Inner Loop Header: Depth=2
	v_add_nc_u32_e32 v4, s6, v5
	s_delay_alu instid0(VALU_DEP_1) | instskip(SKIP_1) | instid1(VALU_DEP_1)
	v_cndmask_b32_e64 v3, v4, v0, s0
	v_cndmask_b32_e64 v18, v0, v4, s0
	v_cmp_gt_i32_e64 s2, v3, v18
	v_mov_b32_e32 v18, 0
	s_delay_alu instid0(VALU_DEP_2) | instskip(SKIP_1) | instid1(VALU_DEP_1)
	v_cndmask_b32_e64 v3, v0, v4, s2
	v_cndmask_b32_e64 v4, v4, v0, s2
	v_max_i32_e32 v19, v3, v4
	s_delay_alu instid0(VALU_DEP_1) | instskip(SKIP_1) | instid1(VALU_DEP_2)
	v_cmp_gt_i32_e64 s2, s37, v19
	v_mov_b32_e32 v19, 0
	s_and_saveexec_b32 s7, s2
	s_cbranch_execz .LBB4_9
; %bb.8:                                ;   in Loop: Header=BB4_7 Depth=2
	v_ashrrev_i32_e32 v21, 31, v4
	v_mul_lo_u32 v22, v4, s21
	v_mad_u64_u32 v[19:20], null, v4, s20, 0
	s_delay_alu instid0(VALU_DEP_3) | instskip(NEXT) | instid1(VALU_DEP_1)
	v_mul_lo_u32 v4, v21, s20
	v_add3_u32 v20, v20, v22, v4
	v_ashrrev_i32_e32 v4, 31, v3
	s_delay_alu instid0(VALU_DEP_2) | instskip(NEXT) | instid1(VALU_DEP_2)
	v_lshlrev_b64 v[19:20], 2, v[19:20]
	v_lshlrev_b64 v[3:4], 2, v[3:4]
	s_delay_alu instid0(VALU_DEP_2) | instskip(NEXT) | instid1(VALU_DEP_1)
	v_add_co_u32 v19, s2, s13, v19
	v_add_co_ci_u32_e64 v20, s2, s16, v20, s2
	s_delay_alu instid0(VALU_DEP_2) | instskip(NEXT) | instid1(VALU_DEP_1)
	v_add_co_u32 v3, s2, v19, v3
	v_add_co_ci_u32_e64 v4, s2, v20, v4, s2
	global_load_b32 v19, v[3:4], off
.LBB4_9:                                ;   in Loop: Header=BB4_7 Depth=2
	s_or_b32 exec_lo, exec_lo, s7
	v_add_nc_u32_e32 v3, s6, v6
	s_waitcnt vmcnt(0)
	ds_store_b32 v8, v19
	v_cmp_gt_i32_e64 s2, s37, v3
	s_delay_alu instid0(VALU_DEP_1) | instskip(NEXT) | instid1(SALU_CYCLE_1)
	s_and_b32 s2, s2, vcc_lo
	s_and_saveexec_b32 s7, s2
	s_cbranch_execz .LBB4_11
; %bb.10:                               ;   in Loop: Header=BB4_7 Depth=2
	v_ashrrev_i32_e32 v4, 31, v3
	s_delay_alu instid0(VALU_DEP_1) | instskip(NEXT) | instid1(VALU_DEP_1)
	v_lshlrev_b64 v[3:4], 2, v[3:4]
	v_add_co_u32 v3, s2, v16, v3
	s_delay_alu instid0(VALU_DEP_1)
	v_add_co_ci_u32_e64 v4, s2, v17, v4, s2
	global_load_b32 v18, v[3:4], off
.LBB4_11:                               ;   in Loop: Header=BB4_7 Depth=2
	s_or_b32 exec_lo, exec_lo, s7
	s_waitcnt vmcnt(0)
	ds_store_b32 v10, v18
	s_waitcnt lgkmcnt(0)
	s_barrier
	buffer_gl0_inv
	s_and_saveexec_b32 s2, s5
	s_cbranch_execz .LBB4_6
; %bb.12:                               ;   in Loop: Header=BB4_7 Depth=2
	global_load_b32 v30, v[1:2], off
	ds_load_2addr_b32 v[3:4], v9 offset1:32
	ds_load_b128 v[18:21], v7
	ds_load_2addr_b32 v[26:27], v9 offset0:64 offset1:96
	ds_load_b128 v[22:25], v7 offset:16
	ds_load_2addr_b32 v[28:29], v9 offset0:128 offset1:160
	s_waitcnt lgkmcnt(3)
	v_fma_f32 v31, v18, v3, 0
	s_delay_alu instid0(VALU_DEP_1) | instskip(SKIP_3) | instid1(VALU_DEP_1)
	v_fmac_f32_e32 v31, v19, v4
	ds_load_2addr_b32 v[3:4], v9 offset0:192 offset1:224
	s_waitcnt lgkmcnt(3)
	v_fmac_f32_e32 v31, v20, v26
	v_fmac_f32_e32 v31, v21, v27
	ds_load_2addr_b32 v[26:27], v13 offset1:32
	ds_load_b128 v[18:21], v7 offset:32
	s_waitcnt lgkmcnt(3)
	v_fmac_f32_e32 v31, v22, v28
	s_delay_alu instid0(VALU_DEP_1) | instskip(SKIP_3) | instid1(VALU_DEP_1)
	v_fmac_f32_e32 v31, v23, v29
	ds_load_2addr_b32 v[28:29], v13 offset0:64 offset1:96
	s_waitcnt lgkmcnt(3)
	v_fmac_f32_e32 v31, v24, v3
	v_fmac_f32_e32 v31, v25, v4
	ds_load_b128 v[22:25], v7 offset:48
	ds_load_2addr_b32 v[3:4], v13 offset0:128 offset1:160
	s_waitcnt lgkmcnt(3)
	v_fmac_f32_e32 v31, v18, v26
	s_delay_alu instid0(VALU_DEP_1) | instskip(SKIP_3) | instid1(VALU_DEP_1)
	v_fmac_f32_e32 v31, v19, v27
	ds_load_2addr_b32 v[26:27], v13 offset0:192 offset1:224
	s_waitcnt lgkmcnt(3)
	v_fmac_f32_e32 v31, v20, v28
	v_fmac_f32_e32 v31, v21, v29
	ds_load_2addr_b32 v[28:29], v14 offset1:32
	ds_load_b128 v[18:21], v7 offset:64
	s_waitcnt lgkmcnt(3)
	v_fmac_f32_e32 v31, v22, v3
	s_delay_alu instid0(VALU_DEP_1) | instskip(SKIP_3) | instid1(VALU_DEP_1)
	v_fmac_f32_e32 v31, v23, v4
	ds_load_2addr_b32 v[3:4], v14 offset0:64 offset1:96
	s_waitcnt lgkmcnt(3)
	v_fmac_f32_e32 v31, v24, v26
	v_fmac_f32_e32 v31, v25, v27
	ds_load_b128 v[22:25], v7 offset:80
	ds_load_2addr_b32 v[26:27], v14 offset0:128 offset1:160
	s_waitcnt lgkmcnt(3)
	v_fmac_f32_e32 v31, v18, v28
	;; [unrolled: 20-line block ×3, first 2 shown]
	s_delay_alu instid0(VALU_DEP_1) | instskip(SKIP_3) | instid1(VALU_DEP_1)
	v_fmac_f32_e32 v31, v19, v4
	ds_load_2addr_b32 v[3:4], v15 offset0:192 offset1:224
	s_waitcnt lgkmcnt(3)
	v_fmac_f32_e32 v31, v20, v26
	v_fmac_f32_e32 v31, v21, v27
	s_waitcnt lgkmcnt(1)
	s_delay_alu instid0(VALU_DEP_1) | instskip(NEXT) | instid1(VALU_DEP_1)
	v_fmac_f32_e32 v31, v22, v28
	v_fmac_f32_e32 v31, v23, v29
	s_waitcnt lgkmcnt(0)
	s_delay_alu instid0(VALU_DEP_1) | instskip(NEXT) | instid1(VALU_DEP_1)
	v_fmac_f32_e32 v31, v24, v3
	v_fmac_f32_e32 v31, v25, v4
	s_waitcnt vmcnt(0)
	s_delay_alu instid0(VALU_DEP_1)
	v_fmac_f32_e32 v30, s39, v31
	global_store_b32 v[1:2], v30, off
	s_branch .LBB4_6
.LBB4_13:
	s_endpgm
	.section	.rodata,"a",@progbits
	.p2align	6, 0x0
	.amdhsa_kernel _ZL24rocblas_symm_hemm_kernelILb0ELb0ELi32EfPKfPfEvbiiT2_T3_lllS4_lllT4_llli
		.amdhsa_group_segment_fixed_size 8192
		.amdhsa_private_segment_fixed_size 0
		.amdhsa_kernarg_size 376
		.amdhsa_user_sgpr_count 13
		.amdhsa_user_sgpr_dispatch_ptr 0
		.amdhsa_user_sgpr_queue_ptr 0
		.amdhsa_user_sgpr_kernarg_segment_ptr 1
		.amdhsa_user_sgpr_dispatch_id 0
		.amdhsa_user_sgpr_private_segment_size 0
		.amdhsa_wavefront_size32 1
		.amdhsa_uses_dynamic_stack 0
		.amdhsa_enable_private_segment 0
		.amdhsa_system_sgpr_workgroup_id_x 1
		.amdhsa_system_sgpr_workgroup_id_y 1
		.amdhsa_system_sgpr_workgroup_id_z 1
		.amdhsa_system_sgpr_workgroup_info 0
		.amdhsa_system_vgpr_workitem_id 1
		.amdhsa_next_free_vgpr 32
		.amdhsa_next_free_sgpr 40
		.amdhsa_reserve_vcc 1
		.amdhsa_float_round_mode_32 0
		.amdhsa_float_round_mode_16_64 0
		.amdhsa_float_denorm_mode_32 3
		.amdhsa_float_denorm_mode_16_64 3
		.amdhsa_dx10_clamp 1
		.amdhsa_ieee_mode 1
		.amdhsa_fp16_overflow 0
		.amdhsa_workgroup_processor_mode 1
		.amdhsa_memory_ordered 1
		.amdhsa_forward_progress 0
		.amdhsa_shared_vgpr_count 0
		.amdhsa_exception_fp_ieee_invalid_op 0
		.amdhsa_exception_fp_denorm_src 0
		.amdhsa_exception_fp_ieee_div_zero 0
		.amdhsa_exception_fp_ieee_overflow 0
		.amdhsa_exception_fp_ieee_underflow 0
		.amdhsa_exception_fp_ieee_inexact 0
		.amdhsa_exception_int_div_zero 0
	.end_amdhsa_kernel
	.section	.text._ZL24rocblas_symm_hemm_kernelILb0ELb0ELi32EfPKfPfEvbiiT2_T3_lllS4_lllT4_llli,"axG",@progbits,_ZL24rocblas_symm_hemm_kernelILb0ELb0ELi32EfPKfPfEvbiiT2_T3_lllS4_lllT4_llli,comdat
.Lfunc_end4:
	.size	_ZL24rocblas_symm_hemm_kernelILb0ELb0ELi32EfPKfPfEvbiiT2_T3_lllS4_lllT4_llli, .Lfunc_end4-_ZL24rocblas_symm_hemm_kernelILb0ELb0ELi32EfPKfPfEvbiiT2_T3_lllS4_lllT4_llli
                                        ; -- End function
	.section	.AMDGPU.csdata,"",@progbits
; Kernel info:
; codeLenInByte = 1360
; NumSgprs: 42
; NumVgprs: 32
; ScratchSize: 0
; MemoryBound: 0
; FloatMode: 240
; IeeeMode: 1
; LDSByteSize: 8192 bytes/workgroup (compile time only)
; SGPRBlocks: 5
; VGPRBlocks: 3
; NumSGPRsForWavesPerEU: 42
; NumVGPRsForWavesPerEU: 32
; Occupancy: 16
; WaveLimiterHint : 0
; COMPUTE_PGM_RSRC2:SCRATCH_EN: 0
; COMPUTE_PGM_RSRC2:USER_SGPR: 13
; COMPUTE_PGM_RSRC2:TRAP_HANDLER: 0
; COMPUTE_PGM_RSRC2:TGID_X_EN: 1
; COMPUTE_PGM_RSRC2:TGID_Y_EN: 1
; COMPUTE_PGM_RSRC2:TGID_Z_EN: 1
; COMPUTE_PGM_RSRC2:TIDIG_COMP_CNT: 1
	.section	.text._ZL24rocblas_symm_hemm_kernelILb0ELb1ELi32EfPKfPfEvbiiT2_T3_lllS4_lllT4_llli,"axG",@progbits,_ZL24rocblas_symm_hemm_kernelILb0ELb1ELi32EfPKfPfEvbiiT2_T3_lllS4_lllT4_llli,comdat
	.globl	_ZL24rocblas_symm_hemm_kernelILb0ELb1ELi32EfPKfPfEvbiiT2_T3_lllS4_lllT4_llli ; -- Begin function _ZL24rocblas_symm_hemm_kernelILb0ELb1ELi32EfPKfPfEvbiiT2_T3_lllS4_lllT4_llli
	.p2align	8
	.type	_ZL24rocblas_symm_hemm_kernelILb0ELb1ELi32EfPKfPfEvbiiT2_T3_lllS4_lllT4_llli,@function
_ZL24rocblas_symm_hemm_kernelILb0ELb1ELi32EfPKfPfEvbiiT2_T3_lllS4_lllT4_llli: ; @_ZL24rocblas_symm_hemm_kernelILb0ELb1ELi32EfPKfPfEvbiiT2_T3_lllS4_lllT4_llli
; %bb.0:
	s_load_b128 s[36:39], s[0:1], 0x0
	s_waitcnt lgkmcnt(0)
	v_cmp_eq_f32_e64 s2, s39, 0
	s_delay_alu instid0(VALU_DEP_1)
	s_and_b32 vcc_lo, exec_lo, s2
	s_cbranch_vccnz .LBB5_13
; %bb.1:
	s_add_i32 s2, s38, -1
	s_delay_alu instid0(SALU_CYCLE_1) | instskip(NEXT) | instid1(SALU_CYCLE_1)
	s_ashr_i32 s3, s2, 31
	s_lshr_b32 s3, s3, 27
	s_delay_alu instid0(SALU_CYCLE_1) | instskip(NEXT) | instid1(SALU_CYCLE_1)
	s_add_i32 s2, s2, s3
	s_ashr_i32 s3, s2, 5
	s_delay_alu instid0(SALU_CYCLE_1)
	s_cmp_gt_i32 s14, s3
	s_cbranch_scc1 .LBB5_13
; %bb.2:
	s_clause 0x2
	s_load_b512 s[16:31], s[0:1], 0x10
	s_load_b256 s[4:11], s[0:1], 0x50
	s_load_b32 s12, s[0:1], 0x7c
	v_and_b32_e32 v4, 0x3ff, v0
	v_bfe_u32 v5, v0, 10, 10
	s_delay_alu instid0(VALU_DEP_2) | instskip(NEXT) | instid1(VALU_DEP_2)
	v_lshl_add_u32 v0, s13, 5, v4
	v_lshlrev_b32_e32 v2, 2, v5
	v_lshlrev_b32_e32 v6, 7, v4
	s_delay_alu instid0(VALU_DEP_3) | instskip(SKIP_1) | instid1(VALU_DEP_4)
	v_ashrrev_i32_e32 v1, 31, v0
	v_cmp_gt_i32_e64 s0, s37, v0
	v_or_b32_e32 v8, 0x1000, v2
	s_delay_alu instid0(VALU_DEP_4) | instskip(NEXT) | instid1(VALU_DEP_4)
	v_add_nc_u32_e32 v7, v6, v2
	v_lshlrev_b64 v[0:1], 2, v[0:1]
	s_delay_alu instid0(VALU_DEP_3)
	v_add_nc_u32_e32 v9, v8, v6
	s_waitcnt lgkmcnt(0)
	s_mul_i32 s1, s15, s23
	s_mul_hi_u32 s2, s15, s22
	s_mul_i32 s22, s15, s22
	s_add_i32 s23, s2, s1
	s_mul_i32 s2, s15, s11
	s_lshl_b64 s[22:23], s[22:23], 2
	v_add_nc_u32_e32 v14, 0x400, v8
	s_add_u32 s1, s16, s22
	s_addc_u32 s13, s17, s23
	s_lshl_b64 s[16:17], s[18:19], 2
	s_mul_hi_u32 s18, s15, s10
	s_add_u32 s11, s1, s16
	s_addc_u32 s13, s13, s17
	s_bitcmp1_b32 s36, 0
	s_mul_i32 s16, s15, s10
	s_cselect_b32 s1, -1, 0
	s_add_i32 s17, s18, s2
	s_mul_i32 s2, s15, s31
	s_lshl_b64 s[16:17], s[16:17], 2
	s_mul_hi_u32 s10, s15, s30
	s_add_u32 s16, s4, s16
	s_addc_u32 s17, s5, s17
	s_lshl_b64 s[4:5], s[6:7], 2
	s_mul_i32 s6, s15, s30
	s_add_u32 s15, s16, s4
	s_addc_u32 s16, s17, s5
	s_add_i32 s7, s10, s2
	v_add_nc_u32_e32 v15, 0x800, v8
	s_lshl_b64 s[4:5], s[6:7], 2
	v_add_nc_u32_e32 v16, 0xc00, v8
	s_add_u32 s2, s24, s4
	s_addc_u32 s6, s25, s5
	s_lshl_b64 s[4:5], s[26:27], 2
	s_delay_alu instid0(SALU_CYCLE_1)
	s_add_u32 s2, s2, s4
	s_addc_u32 s4, s6, s5
	v_add_co_u32 v10, vcc_lo, s2, v0
	v_add_co_ci_u32_e32 v11, vcc_lo, s4, v1, vcc_lo
	v_add_co_u32 v12, vcc_lo, s15, v0
	v_add_co_ci_u32_e32 v13, vcc_lo, s16, v1, vcc_lo
	s_cmp_gt_i32 s38, 0
	s_cselect_b32 s4, -1, 0
	s_branch .LBB5_4
.LBB5_3:                                ;   in Loop: Header=BB5_4 Depth=1
	s_add_i32 s14, s14, s12
	s_delay_alu instid0(SALU_CYCLE_1)
	s_cmp_gt_i32 s14, s3
	s_cbranch_scc1 .LBB5_13
.LBB5_4:                                ; =>This Loop Header: Depth=1
                                        ;     Child Loop BB5_7 Depth 2
	s_and_not1_b32 vcc_lo, exec_lo, s4
	s_cbranch_vccnz .LBB5_3
; %bb.5:                                ;   in Loop: Header=BB5_4 Depth=1
	v_lshl_add_u32 v17, s14, 5, v5
	s_mov_b32 s5, 0
	s_delay_alu instid0(VALU_DEP_1) | instskip(SKIP_3) | instid1(VALU_DEP_4)
	v_ashrrev_i32_e32 v2, 31, v17
	v_mul_lo_u32 v3, v17, s9
	v_mad_u64_u32 v[0:1], null, v17, s8, 0
	v_cmp_gt_i32_e32 vcc_lo, s38, v17
	v_mul_lo_u32 v2, v2, s8
	s_delay_alu instid0(VALU_DEP_1) | instskip(NEXT) | instid1(VALU_DEP_1)
	v_add3_u32 v1, v1, v3, v2
	v_lshlrev_b64 v[0:1], 2, v[0:1]
	s_delay_alu instid0(VALU_DEP_1) | instskip(NEXT) | instid1(VALU_DEP_1)
	v_add_co_u32 v0, s2, v12, v0
	v_add_co_ci_u32_e64 v1, s2, v13, v1, s2
	s_and_b32 s2, s0, vcc_lo
	s_branch .LBB5_7
.LBB5_6:                                ;   in Loop: Header=BB5_7 Depth=2
	s_or_b32 exec_lo, exec_lo, s6
	s_add_i32 s5, s5, 32
	s_waitcnt_vscnt null, 0x0
	s_cmp_ge_i32 s5, s38
	s_barrier
	buffer_gl0_inv
	s_cbranch_scc1 .LBB5_3
.LBB5_7:                                ;   Parent Loop BB5_4 Depth=1
                                        ; =>  This Inner Loop Header: Depth=2
	v_dual_mov_b32 v3, 0 :: v_dual_add_nc_u32 v2, s5, v5
	v_mov_b32_e32 v18, 0
	s_delay_alu instid0(VALU_DEP_2) | instskip(SKIP_1) | instid1(SALU_CYCLE_1)
	v_cmp_gt_i32_e32 vcc_lo, s38, v2
	s_and_b32 s7, s0, vcc_lo
	s_and_saveexec_b32 s6, s7
	s_cbranch_execz .LBB5_9
; %bb.8:                                ;   in Loop: Header=BB5_7 Depth=2
	v_ashrrev_i32_e32 v20, 31, v2
	v_mul_lo_u32 v21, v2, s29
	v_mad_u64_u32 v[18:19], null, v2, s28, 0
	s_delay_alu instid0(VALU_DEP_3) | instskip(NEXT) | instid1(VALU_DEP_1)
	v_mul_lo_u32 v2, v20, s28
	v_add3_u32 v19, v19, v21, v2
	s_delay_alu instid0(VALU_DEP_1) | instskip(NEXT) | instid1(VALU_DEP_1)
	v_lshlrev_b64 v[18:19], 2, v[18:19]
	v_add_co_u32 v18, vcc_lo, v10, v18
	s_delay_alu instid0(VALU_DEP_2)
	v_add_co_ci_u32_e32 v19, vcc_lo, v11, v19, vcc_lo
	global_load_b32 v18, v[18:19], off
.LBB5_9:                                ;   in Loop: Header=BB5_7 Depth=2
	s_or_b32 exec_lo, exec_lo, s6
	v_add_nc_u32_e32 v19, s5, v4
	s_mov_b32 s6, exec_lo
	s_waitcnt vmcnt(0)
	ds_store_b32 v7, v18
	v_cndmask_b32_e64 v2, v17, v19, s1
	v_cndmask_b32_e64 v20, v19, v17, s1
	s_delay_alu instid0(VALU_DEP_1) | instskip(SKIP_1) | instid1(VALU_DEP_1)
	v_cmp_gt_i32_e32 vcc_lo, v2, v20
	v_dual_cndmask_b32 v2, v19, v17 :: v_dual_cndmask_b32 v19, v17, v19
	v_max_i32_e32 v20, v2, v19
	s_delay_alu instid0(VALU_DEP_1)
	v_cmpx_gt_i32_e64 s38, v20
	s_cbranch_execz .LBB5_11
; %bb.10:                               ;   in Loop: Header=BB5_7 Depth=2
	v_ashrrev_i32_e32 v3, 31, v19
	v_mul_lo_u32 v18, v19, s21
	v_mad_u64_u32 v[20:21], null, v19, s20, 0
	s_delay_alu instid0(VALU_DEP_3) | instskip(NEXT) | instid1(VALU_DEP_1)
	v_mul_lo_u32 v3, v3, s20
	v_add3_u32 v21, v21, v18, v3
	v_ashrrev_i32_e32 v3, 31, v2
	s_delay_alu instid0(VALU_DEP_2) | instskip(NEXT) | instid1(VALU_DEP_2)
	v_lshlrev_b64 v[18:19], 2, v[20:21]
	v_lshlrev_b64 v[2:3], 2, v[2:3]
	s_delay_alu instid0(VALU_DEP_2) | instskip(NEXT) | instid1(VALU_DEP_3)
	v_add_co_u32 v18, vcc_lo, s11, v18
	v_add_co_ci_u32_e32 v19, vcc_lo, s13, v19, vcc_lo
	s_delay_alu instid0(VALU_DEP_2) | instskip(NEXT) | instid1(VALU_DEP_2)
	v_add_co_u32 v2, vcc_lo, v18, v2
	v_add_co_ci_u32_e32 v3, vcc_lo, v19, v3, vcc_lo
	global_load_b32 v3, v[2:3], off
.LBB5_11:                               ;   in Loop: Header=BB5_7 Depth=2
	s_or_b32 exec_lo, exec_lo, s6
	s_waitcnt vmcnt(0)
	ds_store_b32 v9, v3
	s_waitcnt lgkmcnt(0)
	s_barrier
	buffer_gl0_inv
	s_and_saveexec_b32 s6, s2
	s_cbranch_execz .LBB5_6
; %bb.12:                               ;   in Loop: Header=BB5_7 Depth=2
	global_load_b32 v30, v[0:1], off
	ds_load_2addr_b32 v[2:3], v8 offset1:32
	ds_load_b128 v[18:21], v6
	ds_load_2addr_b32 v[26:27], v8 offset0:64 offset1:96
	ds_load_b128 v[22:25], v6 offset:16
	ds_load_2addr_b32 v[28:29], v8 offset0:128 offset1:160
	s_waitcnt lgkmcnt(3)
	v_fma_f32 v31, v18, v2, 0
	s_delay_alu instid0(VALU_DEP_1) | instskip(SKIP_3) | instid1(VALU_DEP_1)
	v_fmac_f32_e32 v31, v19, v3
	ds_load_2addr_b32 v[2:3], v8 offset0:192 offset1:224
	s_waitcnt lgkmcnt(3)
	v_fmac_f32_e32 v31, v20, v26
	v_fmac_f32_e32 v31, v21, v27
	ds_load_2addr_b32 v[26:27], v14 offset1:32
	ds_load_b128 v[18:21], v6 offset:32
	s_waitcnt lgkmcnt(3)
	v_fmac_f32_e32 v31, v22, v28
	s_delay_alu instid0(VALU_DEP_1) | instskip(SKIP_3) | instid1(VALU_DEP_1)
	v_fmac_f32_e32 v31, v23, v29
	ds_load_2addr_b32 v[28:29], v14 offset0:64 offset1:96
	s_waitcnt lgkmcnt(3)
	v_fmac_f32_e32 v31, v24, v2
	v_fmac_f32_e32 v31, v25, v3
	ds_load_b128 v[22:25], v6 offset:48
	ds_load_2addr_b32 v[2:3], v14 offset0:128 offset1:160
	s_waitcnt lgkmcnt(3)
	v_fmac_f32_e32 v31, v18, v26
	s_delay_alu instid0(VALU_DEP_1) | instskip(SKIP_3) | instid1(VALU_DEP_1)
	v_fmac_f32_e32 v31, v19, v27
	ds_load_2addr_b32 v[26:27], v14 offset0:192 offset1:224
	s_waitcnt lgkmcnt(3)
	v_fmac_f32_e32 v31, v20, v28
	v_fmac_f32_e32 v31, v21, v29
	ds_load_2addr_b32 v[28:29], v15 offset1:32
	ds_load_b128 v[18:21], v6 offset:64
	s_waitcnt lgkmcnt(3)
	v_fmac_f32_e32 v31, v22, v2
	s_delay_alu instid0(VALU_DEP_1) | instskip(SKIP_3) | instid1(VALU_DEP_1)
	v_fmac_f32_e32 v31, v23, v3
	ds_load_2addr_b32 v[2:3], v15 offset0:64 offset1:96
	s_waitcnt lgkmcnt(3)
	v_fmac_f32_e32 v31, v24, v26
	v_fmac_f32_e32 v31, v25, v27
	ds_load_b128 v[22:25], v6 offset:80
	ds_load_2addr_b32 v[26:27], v15 offset0:128 offset1:160
	s_waitcnt lgkmcnt(3)
	v_fmac_f32_e32 v31, v18, v28
	s_delay_alu instid0(VALU_DEP_1) | instskip(SKIP_3) | instid1(VALU_DEP_1)
	v_fmac_f32_e32 v31, v19, v29
	ds_load_2addr_b32 v[28:29], v15 offset0:192 offset1:224
	s_waitcnt lgkmcnt(3)
	v_fmac_f32_e32 v31, v20, v2
	v_fmac_f32_e32 v31, v21, v3
	ds_load_2addr_b32 v[2:3], v16 offset1:32
	ds_load_b128 v[18:21], v6 offset:96
	s_waitcnt lgkmcnt(3)
	v_fmac_f32_e32 v31, v22, v26
	s_delay_alu instid0(VALU_DEP_1) | instskip(SKIP_3) | instid1(VALU_DEP_1)
	v_fmac_f32_e32 v31, v23, v27
	ds_load_2addr_b32 v[26:27], v16 offset0:64 offset1:96
	s_waitcnt lgkmcnt(3)
	v_fmac_f32_e32 v31, v24, v28
	v_fmac_f32_e32 v31, v25, v29
	ds_load_b128 v[22:25], v6 offset:112
	ds_load_2addr_b32 v[28:29], v16 offset0:128 offset1:160
	s_waitcnt lgkmcnt(3)
	v_fmac_f32_e32 v31, v18, v2
	s_delay_alu instid0(VALU_DEP_1) | instskip(SKIP_3) | instid1(VALU_DEP_1)
	v_fmac_f32_e32 v31, v19, v3
	ds_load_2addr_b32 v[2:3], v16 offset0:192 offset1:224
	s_waitcnt lgkmcnt(3)
	v_fmac_f32_e32 v31, v20, v26
	v_fmac_f32_e32 v31, v21, v27
	s_waitcnt lgkmcnt(1)
	s_delay_alu instid0(VALU_DEP_1) | instskip(NEXT) | instid1(VALU_DEP_1)
	v_fmac_f32_e32 v31, v22, v28
	v_fmac_f32_e32 v31, v23, v29
	s_waitcnt lgkmcnt(0)
	s_delay_alu instid0(VALU_DEP_1) | instskip(NEXT) | instid1(VALU_DEP_1)
	v_fmac_f32_e32 v31, v24, v2
	v_fmac_f32_e32 v31, v25, v3
	s_waitcnt vmcnt(0)
	s_delay_alu instid0(VALU_DEP_1)
	v_fmac_f32_e32 v30, s39, v31
	global_store_b32 v[0:1], v30, off
	s_branch .LBB5_6
.LBB5_13:
	s_endpgm
	.section	.rodata,"a",@progbits
	.p2align	6, 0x0
	.amdhsa_kernel _ZL24rocblas_symm_hemm_kernelILb0ELb1ELi32EfPKfPfEvbiiT2_T3_lllS4_lllT4_llli
		.amdhsa_group_segment_fixed_size 8192
		.amdhsa_private_segment_fixed_size 0
		.amdhsa_kernarg_size 376
		.amdhsa_user_sgpr_count 13
		.amdhsa_user_sgpr_dispatch_ptr 0
		.amdhsa_user_sgpr_queue_ptr 0
		.amdhsa_user_sgpr_kernarg_segment_ptr 1
		.amdhsa_user_sgpr_dispatch_id 0
		.amdhsa_user_sgpr_private_segment_size 0
		.amdhsa_wavefront_size32 1
		.amdhsa_uses_dynamic_stack 0
		.amdhsa_enable_private_segment 0
		.amdhsa_system_sgpr_workgroup_id_x 1
		.amdhsa_system_sgpr_workgroup_id_y 1
		.amdhsa_system_sgpr_workgroup_id_z 1
		.amdhsa_system_sgpr_workgroup_info 0
		.amdhsa_system_vgpr_workitem_id 1
		.amdhsa_next_free_vgpr 32
		.amdhsa_next_free_sgpr 40
		.amdhsa_reserve_vcc 1
		.amdhsa_float_round_mode_32 0
		.amdhsa_float_round_mode_16_64 0
		.amdhsa_float_denorm_mode_32 3
		.amdhsa_float_denorm_mode_16_64 3
		.amdhsa_dx10_clamp 1
		.amdhsa_ieee_mode 1
		.amdhsa_fp16_overflow 0
		.amdhsa_workgroup_processor_mode 1
		.amdhsa_memory_ordered 1
		.amdhsa_forward_progress 0
		.amdhsa_shared_vgpr_count 0
		.amdhsa_exception_fp_ieee_invalid_op 0
		.amdhsa_exception_fp_denorm_src 0
		.amdhsa_exception_fp_ieee_div_zero 0
		.amdhsa_exception_fp_ieee_overflow 0
		.amdhsa_exception_fp_ieee_underflow 0
		.amdhsa_exception_fp_ieee_inexact 0
		.amdhsa_exception_int_div_zero 0
	.end_amdhsa_kernel
	.section	.text._ZL24rocblas_symm_hemm_kernelILb0ELb1ELi32EfPKfPfEvbiiT2_T3_lllS4_lllT4_llli,"axG",@progbits,_ZL24rocblas_symm_hemm_kernelILb0ELb1ELi32EfPKfPfEvbiiT2_T3_lllS4_lllT4_llli,comdat
.Lfunc_end5:
	.size	_ZL24rocblas_symm_hemm_kernelILb0ELb1ELi32EfPKfPfEvbiiT2_T3_lllS4_lllT4_llli, .Lfunc_end5-_ZL24rocblas_symm_hemm_kernelILb0ELb1ELi32EfPKfPfEvbiiT2_T3_lllS4_lllT4_llli
                                        ; -- End function
	.section	.AMDGPU.csdata,"",@progbits
; Kernel info:
; codeLenInByte = 1320
; NumSgprs: 42
; NumVgprs: 32
; ScratchSize: 0
; MemoryBound: 0
; FloatMode: 240
; IeeeMode: 1
; LDSByteSize: 8192 bytes/workgroup (compile time only)
; SGPRBlocks: 5
; VGPRBlocks: 3
; NumSGPRsForWavesPerEU: 42
; NumVGPRsForWavesPerEU: 32
; Occupancy: 16
; WaveLimiterHint : 0
; COMPUTE_PGM_RSRC2:SCRATCH_EN: 0
; COMPUTE_PGM_RSRC2:USER_SGPR: 13
; COMPUTE_PGM_RSRC2:TRAP_HANDLER: 0
; COMPUTE_PGM_RSRC2:TGID_X_EN: 1
; COMPUTE_PGM_RSRC2:TGID_Y_EN: 1
; COMPUTE_PGM_RSRC2:TGID_Z_EN: 1
; COMPUTE_PGM_RSRC2:TIDIG_COMP_CNT: 1
	.section	.text._ZL25rocblas_symm_scale_kernelILi128ELi8EPKdPdEviiT1_T2_llli,"axG",@progbits,_ZL25rocblas_symm_scale_kernelILi128ELi8EPKdPdEviiT1_T2_llli,comdat
	.globl	_ZL25rocblas_symm_scale_kernelILi128ELi8EPKdPdEviiT1_T2_llli ; -- Begin function _ZL25rocblas_symm_scale_kernelILi128ELi8EPKdPdEviiT1_T2_llli
	.p2align	8
	.type	_ZL25rocblas_symm_scale_kernelILi128ELi8EPKdPdEviiT1_T2_llli,@function
_ZL25rocblas_symm_scale_kernelILi128ELi8EPKdPdEviiT1_T2_llli: ; @_ZL25rocblas_symm_scale_kernelILi128ELi8EPKdPdEviiT1_T2_llli
; %bb.0:
	s_load_b256 s[4:11], s[0:1], 0x8
	s_waitcnt lgkmcnt(0)
	s_load_b64 s[4:5], s[4:5], 0x0
	s_waitcnt lgkmcnt(0)
	v_cmp_eq_f64_e64 s2, s[4:5], 1.0
	s_delay_alu instid0(VALU_DEP_1)
	s_and_b32 vcc_lo, exec_lo, s2
	s_cbranch_vccnz .LBB6_7
; %bb.1:
	s_load_b64 s[2:3], s[0:1], 0x0
	v_bfe_u32 v2, v0, 10, 10
	v_and_b32_e32 v3, 0x3ff, v0
	v_mov_b32_e32 v1, 0
	s_delay_alu instid0(VALU_DEP_3) | instskip(NEXT) | instid1(VALU_DEP_3)
	v_lshl_add_u32 v0, s14, 3, v2
	v_lshl_add_u32 v2, s13, 7, v3
	s_waitcnt lgkmcnt(0)
	s_ashr_i32 s13, s3, 31
	s_mov_b32 s12, s3
	s_delay_alu instid0(VALU_DEP_1) | instskip(SKIP_1) | instid1(VALU_DEP_2)
	v_cmp_gt_u32_e64 s2, s2, v2
	v_cmp_gt_i64_e32 vcc_lo, s[12:13], v[0:1]
	s_and_b32 s2, s2, vcc_lo
	s_delay_alu instid0(SALU_CYCLE_1)
	s_and_saveexec_b32 s3, s2
	s_cbranch_execz .LBB6_7
; %bb.2:
	s_clause 0x1
	s_load_b32 s14, s[0:1], 0x3c
	s_load_b64 s[2:3], s[0:1], 0x28
	v_mad_u64_u32 v[4:5], null, s10, v0, 0
	s_lshl_b64 s[8:9], s[8:9], 3
	s_delay_alu instid0(VALU_DEP_1) | instskip(NEXT) | instid1(VALU_DEP_1)
	v_mov_b32_e32 v3, v5
	v_mad_u64_u32 v[5:6], null, s11, v0, v[3:4]
	v_mov_b32_e32 v3, v1
	s_waitcnt lgkmcnt(0)
	s_lshl_b32 s1, s14, 3
	s_mul_i32 s0, s3, s15
	s_mul_hi_u32 s3, s2, s15
	s_mul_i32 s2, s2, s15
	s_add_i32 s3, s3, s0
	v_lshlrev_b64 v[4:5], 3, v[4:5]
	s_lshl_b64 s[2:3], s[2:3], 3
	v_lshlrev_b64 v[2:3], 3, v[2:3]
	s_add_u32 s2, s8, s2
	s_addc_u32 s3, s9, s3
	s_mul_i32 s0, s11, s1
	v_add_co_u32 v4, vcc_lo, s2, v4
	v_add_co_ci_u32_e32 v5, vcc_lo, s3, v5, vcc_lo
	s_mul_hi_u32 s2, s10, s1
	s_delay_alu instid0(VALU_DEP_2) | instskip(NEXT) | instid1(VALU_DEP_2)
	v_add_co_u32 v2, vcc_lo, v4, v2
	v_add_co_ci_u32_e32 v3, vcc_lo, v5, v3, vcc_lo
	s_add_i32 s3, s2, s0
	s_delay_alu instid0(VALU_DEP_2) | instskip(SKIP_1) | instid1(VALU_DEP_3)
	v_add_co_u32 v2, vcc_lo, s6, v2
	v_cmp_neq_f64_e64 s6, s[4:5], 0
	v_add_co_ci_u32_e32 v3, vcc_lo, s7, v3, vcc_lo
	s_mul_i32 s2, s10, s1
	s_mov_b32 s7, 0
	s_lshl_b64 s[2:3], s[2:3], 3
	s_branch .LBB6_5
	.p2align	6
.LBB6_3:                                ;   in Loop: Header=BB6_5 Depth=1
	global_load_b64 v[4:5], v[2:3], off
	s_waitcnt vmcnt(0)
	v_mul_f64 v[4:5], s[4:5], v[4:5]
.LBB6_4:                                ;   in Loop: Header=BB6_5 Depth=1
	v_add_co_u32 v0, vcc_lo, v0, s1
	v_add_co_ci_u32_e32 v1, vcc_lo, 0, v1, vcc_lo
	global_store_b64 v[2:3], v[4:5], off
	v_add_co_u32 v2, s0, v2, s2
	v_cmp_le_i64_e32 vcc_lo, s[12:13], v[0:1]
	v_add_co_ci_u32_e64 v3, s0, s3, v3, s0
	s_or_b32 s7, vcc_lo, s7
	s_delay_alu instid0(SALU_CYCLE_1)
	s_and_not1_b32 exec_lo, exec_lo, s7
	s_cbranch_execz .LBB6_7
.LBB6_5:                                ; =>This Inner Loop Header: Depth=1
	s_delay_alu instid0(VALU_DEP_2)
	s_and_not1_b32 vcc_lo, exec_lo, s6
	s_cbranch_vccz .LBB6_3
; %bb.6:                                ;   in Loop: Header=BB6_5 Depth=1
	v_mov_b32_e32 v4, 0
	v_mov_b32_e32 v5, 0
	s_branch .LBB6_4
.LBB6_7:
	s_nop 0
	s_sendmsg sendmsg(MSG_DEALLOC_VGPRS)
	s_endpgm
	.section	.rodata,"a",@progbits
	.p2align	6, 0x0
	.amdhsa_kernel _ZL25rocblas_symm_scale_kernelILi128ELi8EPKdPdEviiT1_T2_llli
		.amdhsa_group_segment_fixed_size 0
		.amdhsa_private_segment_fixed_size 0
		.amdhsa_kernarg_size 312
		.amdhsa_user_sgpr_count 13
		.amdhsa_user_sgpr_dispatch_ptr 0
		.amdhsa_user_sgpr_queue_ptr 0
		.amdhsa_user_sgpr_kernarg_segment_ptr 1
		.amdhsa_user_sgpr_dispatch_id 0
		.amdhsa_user_sgpr_private_segment_size 0
		.amdhsa_wavefront_size32 1
		.amdhsa_uses_dynamic_stack 0
		.amdhsa_enable_private_segment 0
		.amdhsa_system_sgpr_workgroup_id_x 1
		.amdhsa_system_sgpr_workgroup_id_y 1
		.amdhsa_system_sgpr_workgroup_id_z 1
		.amdhsa_system_sgpr_workgroup_info 0
		.amdhsa_system_vgpr_workitem_id 1
		.amdhsa_next_free_vgpr 7
		.amdhsa_next_free_sgpr 16
		.amdhsa_reserve_vcc 1
		.amdhsa_float_round_mode_32 0
		.amdhsa_float_round_mode_16_64 0
		.amdhsa_float_denorm_mode_32 3
		.amdhsa_float_denorm_mode_16_64 3
		.amdhsa_dx10_clamp 1
		.amdhsa_ieee_mode 1
		.amdhsa_fp16_overflow 0
		.amdhsa_workgroup_processor_mode 1
		.amdhsa_memory_ordered 1
		.amdhsa_forward_progress 0
		.amdhsa_shared_vgpr_count 0
		.amdhsa_exception_fp_ieee_invalid_op 0
		.amdhsa_exception_fp_denorm_src 0
		.amdhsa_exception_fp_ieee_div_zero 0
		.amdhsa_exception_fp_ieee_overflow 0
		.amdhsa_exception_fp_ieee_underflow 0
		.amdhsa_exception_fp_ieee_inexact 0
		.amdhsa_exception_int_div_zero 0
	.end_amdhsa_kernel
	.section	.text._ZL25rocblas_symm_scale_kernelILi128ELi8EPKdPdEviiT1_T2_llli,"axG",@progbits,_ZL25rocblas_symm_scale_kernelILi128ELi8EPKdPdEviiT1_T2_llli,comdat
.Lfunc_end6:
	.size	_ZL25rocblas_symm_scale_kernelILi128ELi8EPKdPdEviiT1_T2_llli, .Lfunc_end6-_ZL25rocblas_symm_scale_kernelILi128ELi8EPKdPdEviiT1_T2_llli
                                        ; -- End function
	.section	.AMDGPU.csdata,"",@progbits
; Kernel info:
; codeLenInByte = 432
; NumSgprs: 18
; NumVgprs: 7
; ScratchSize: 0
; MemoryBound: 1
; FloatMode: 240
; IeeeMode: 1
; LDSByteSize: 0 bytes/workgroup (compile time only)
; SGPRBlocks: 2
; VGPRBlocks: 0
; NumSGPRsForWavesPerEU: 18
; NumVGPRsForWavesPerEU: 7
; Occupancy: 16
; WaveLimiterHint : 0
; COMPUTE_PGM_RSRC2:SCRATCH_EN: 0
; COMPUTE_PGM_RSRC2:USER_SGPR: 13
; COMPUTE_PGM_RSRC2:TRAP_HANDLER: 0
; COMPUTE_PGM_RSRC2:TGID_X_EN: 1
; COMPUTE_PGM_RSRC2:TGID_Y_EN: 1
; COMPUTE_PGM_RSRC2:TGID_Z_EN: 1
; COMPUTE_PGM_RSRC2:TIDIG_COMP_CNT: 1
	.section	.text._ZL24rocblas_symm_hemm_kernelILb0ELb0ELi32EPKdS1_PdEvbiiT2_T3_lllS4_lllT4_llli,"axG",@progbits,_ZL24rocblas_symm_hemm_kernelILb0ELb0ELi32EPKdS1_PdEvbiiT2_T3_lllS4_lllT4_llli,comdat
	.globl	_ZL24rocblas_symm_hemm_kernelILb0ELb0ELi32EPKdS1_PdEvbiiT2_T3_lllS4_lllT4_llli ; -- Begin function _ZL24rocblas_symm_hemm_kernelILb0ELb0ELi32EPKdS1_PdEvbiiT2_T3_lllS4_lllT4_llli
	.p2align	8
	.type	_ZL24rocblas_symm_hemm_kernelILb0ELb0ELi32EPKdS1_PdEvbiiT2_T3_lllS4_lllT4_llli,@function
_ZL24rocblas_symm_hemm_kernelILb0ELb0ELi32EPKdS1_PdEvbiiT2_T3_lllS4_lllT4_llli: ; @_ZL24rocblas_symm_hemm_kernelILb0ELb0ELi32EPKdS1_PdEvbiiT2_T3_lllS4_lllT4_llli
; %bb.0:
	s_load_b512 s[16:31], s[0:1], 0x10
	s_waitcnt lgkmcnt(0)
	s_load_b64 s[16:17], s[16:17], 0x0
	s_waitcnt lgkmcnt(0)
	v_cmp_eq_f64_e64 s2, s[16:17], 0
	s_delay_alu instid0(VALU_DEP_1)
	s_and_b32 vcc_lo, exec_lo, s2
	s_cbranch_vccnz .LBB7_13
; %bb.1:
	s_load_b128 s[36:39], s[0:1], 0x0
	s_waitcnt lgkmcnt(0)
	s_add_i32 s2, s38, -1
	s_delay_alu instid0(SALU_CYCLE_1) | instskip(NEXT) | instid1(SALU_CYCLE_1)
	s_ashr_i32 s3, s2, 31
	s_lshr_b32 s3, s3, 27
	s_delay_alu instid0(SALU_CYCLE_1) | instskip(NEXT) | instid1(SALU_CYCLE_1)
	s_add_i32 s2, s2, s3
	s_ashr_i32 s3, s2, 5
	s_delay_alu instid0(SALU_CYCLE_1)
	s_cmp_gt_i32 s14, s3
	s_cbranch_scc1 .LBB7_13
; %bb.2:
	s_load_b256 s[4:11], s[0:1], 0x50
	s_mul_i32 s2, s15, s25
	s_mul_hi_u32 s12, s15, s24
	s_load_b64 s[34:35], s[0:1], 0x70
	s_mul_i32 s24, s15, s24
	s_add_i32 s25, s12, s2
	s_load_b32 s12, s[0:1], 0x84
	v_and_b32_e32 v8, 0x3ff, v0
	s_lshl_b64 s[24:25], s[24:25], 3
	v_bfe_u32 v9, v0, 10, 10
	s_add_u32 s2, s18, s24
	s_addc_u32 s18, s19, s25
	s_lshl_b64 s[0:1], s[20:21], 3
	v_lshl_add_u32 v0, s13, 5, v8
	s_add_u32 s13, s2, s0
	s_addc_u32 s18, s18, s1
	v_lshlrev_b32_e32 v3, 3, v9
	v_lshlrev_b32_e32 v10, 8, v8
	v_ashrrev_i32_e32 v1, 31, v0
	s_waitcnt lgkmcnt(0)
	s_mul_i32 s1, s15, s5
	s_mul_hi_u32 s2, s15, s4
	s_mul_i32 s0, s15, s4
	s_add_i32 s1, s2, s1
	s_mul_i32 s2, s15, s35
	s_lshl_b64 s[0:1], s[0:1], 3
	s_mul_hi_u32 s19, s15, s34
	s_add_u32 s4, s26, s0
	s_addc_u32 s5, s27, s1
	s_lshl_b64 s[0:1], s[28:29], 3
	s_mul_i32 s20, s15, s34
	s_add_u32 s4, s4, s0
	s_addc_u32 s5, s5, s1
	s_bitcmp1_b32 s36, 0
	v_lshlrev_b64 v[1:2], 3, v[0:1]
	s_cselect_b32 s0, -1, 0
	s_add_i32 s21, s19, s2
	v_or_b32_e32 v11, 0x2000, v3
	s_lshl_b64 s[20:21], s[20:21], 3
	v_add_nc_u32_e32 v12, v10, v3
	s_add_u32 s1, s6, s20
	s_addc_u32 s2, s7, s21
	s_lshl_b64 s[6:7], s[8:9], 3
	v_add_nc_u32_e32 v13, v11, v10
	s_add_u32 s6, s1, s6
	s_addc_u32 s2, s2, s7
	v_add_co_u32 v14, vcc_lo, s6, v1
	v_cmp_gt_i32_e64 s1, s37, v0
	v_add_co_ci_u32_e32 v15, vcc_lo, s2, v2, vcc_lo
	v_add_nc_u32_e32 v16, 0x800, v11
	v_add_nc_u32_e32 v17, 0x1000, v11
	;; [unrolled: 1-line block ×3, first 2 shown]
	s_cmp_gt_i32 s37, 0
	s_cselect_b32 s6, -1, 0
	s_branch .LBB7_4
.LBB7_3:                                ;   in Loop: Header=BB7_4 Depth=1
	s_add_i32 s14, s14, s12
	s_delay_alu instid0(SALU_CYCLE_1)
	s_cmp_gt_i32 s14, s3
	s_cbranch_scc1 .LBB7_13
.LBB7_4:                                ; =>This Loop Header: Depth=1
                                        ;     Child Loop BB7_7 Depth 2
	s_and_not1_b32 vcc_lo, exec_lo, s6
	s_cbranch_vccnz .LBB7_3
; %bb.5:                                ;   in Loop: Header=BB7_4 Depth=1
	v_lshl_add_u32 v5, s14, 5, v9
	s_mov_b32 s8, 0
	s_delay_alu instid0(VALU_DEP_1) | instskip(SKIP_3) | instid1(VALU_DEP_4)
	v_ashrrev_i32_e32 v6, 31, v5
	v_mul_lo_u32 v7, v5, s31
	v_mad_u64_u32 v[1:2], null, v5, s30, 0
	v_mul_lo_u32 v20, v5, s11
	v_mul_lo_u32 v19, v6, s30
	v_mad_u64_u32 v[3:4], null, v5, s10, 0
	v_mul_lo_u32 v6, v6, s10
	v_cmp_gt_i32_e32 vcc_lo, s38, v5
	s_delay_alu instid0(VALU_DEP_4) | instskip(SKIP_1) | instid1(VALU_DEP_3)
	v_add3_u32 v2, v2, v7, v19
	s_and_b32 s7, s1, vcc_lo
	v_add3_u32 v4, v4, v20, v6
	s_delay_alu instid0(VALU_DEP_2) | instskip(NEXT) | instid1(VALU_DEP_2)
	v_lshlrev_b64 v[1:2], 3, v[1:2]
	v_lshlrev_b64 v[3:4], 3, v[3:4]
	s_delay_alu instid0(VALU_DEP_2) | instskip(NEXT) | instid1(VALU_DEP_1)
	v_add_co_u32 v19, s2, s4, v1
	v_add_co_ci_u32_e64 v20, s2, s5, v2, s2
	s_delay_alu instid0(VALU_DEP_3) | instskip(NEXT) | instid1(VALU_DEP_1)
	v_add_co_u32 v1, s2, v14, v3
	v_add_co_ci_u32_e64 v2, s2, v15, v4, s2
	s_branch .LBB7_7
.LBB7_6:                                ;   in Loop: Header=BB7_7 Depth=2
	s_or_b32 exec_lo, exec_lo, s2
	s_add_i32 s8, s8, 32
	s_waitcnt_vscnt null, 0x0
	s_cmp_ge_i32 s8, s37
	s_barrier
	buffer_gl0_inv
	s_cbranch_scc1 .LBB7_3
.LBB7_7:                                ;   Parent Loop BB7_4 Depth=1
                                        ; =>  This Inner Loop Header: Depth=2
	v_add_nc_u32_e32 v3, s8, v9
	s_delay_alu instid0(VALU_DEP_1) | instskip(SKIP_1) | instid1(VALU_DEP_1)
	v_cndmask_b32_e64 v4, v3, v0, s0
	v_cndmask_b32_e64 v5, v0, v3, s0
	v_cmp_gt_i32_e64 s2, v4, v5
	s_delay_alu instid0(VALU_DEP_1) | instskip(SKIP_3) | instid1(VALU_DEP_3)
	v_cndmask_b32_e64 v5, v0, v3, s2
	v_cndmask_b32_e64 v21, v3, v0, s2
	v_mov_b32_e32 v3, 0
	v_mov_b32_e32 v4, 0
	v_max_i32_e32 v6, v5, v21
	s_delay_alu instid0(VALU_DEP_1) | instskip(NEXT) | instid1(VALU_DEP_3)
	v_cmp_gt_i32_e64 s2, s37, v6
	v_dual_mov_b32 v7, v4 :: v_dual_mov_b32 v6, v3
	s_delay_alu instid0(VALU_DEP_2)
	s_and_saveexec_b32 s9, s2
	s_cbranch_execz .LBB7_9
; %bb.8:                                ;   in Loop: Header=BB7_7 Depth=2
	v_ashrrev_i32_e32 v6, 31, v21
	v_mul_lo_u32 v7, v21, s23
	v_mad_u64_u32 v[22:23], null, v21, s22, 0
	s_delay_alu instid0(VALU_DEP_3) | instskip(NEXT) | instid1(VALU_DEP_1)
	v_mul_lo_u32 v6, v6, s22
	v_add3_u32 v23, v23, v7, v6
	v_ashrrev_i32_e32 v6, 31, v5
	s_delay_alu instid0(VALU_DEP_2) | instskip(NEXT) | instid1(VALU_DEP_2)
	v_lshlrev_b64 v[21:22], 3, v[22:23]
	v_lshlrev_b64 v[5:6], 3, v[5:6]
	s_delay_alu instid0(VALU_DEP_2) | instskip(NEXT) | instid1(VALU_DEP_1)
	v_add_co_u32 v7, s2, s13, v21
	v_add_co_ci_u32_e64 v21, s2, s18, v22, s2
	s_delay_alu instid0(VALU_DEP_2) | instskip(NEXT) | instid1(VALU_DEP_1)
	v_add_co_u32 v5, s2, v7, v5
	v_add_co_ci_u32_e64 v6, s2, v21, v6, s2
	global_load_b64 v[6:7], v[5:6], off
.LBB7_9:                                ;   in Loop: Header=BB7_7 Depth=2
	s_or_b32 exec_lo, exec_lo, s9
	v_add_nc_u32_e32 v5, s8, v8
	s_waitcnt vmcnt(0)
	ds_store_b64 v12, v[6:7]
	v_cmp_gt_i32_e64 s2, s37, v5
	s_delay_alu instid0(VALU_DEP_1) | instskip(NEXT) | instid1(SALU_CYCLE_1)
	s_and_b32 s2, s2, vcc_lo
	s_and_saveexec_b32 s9, s2
	s_cbranch_execz .LBB7_11
; %bb.10:                               ;   in Loop: Header=BB7_7 Depth=2
	v_ashrrev_i32_e32 v6, 31, v5
	s_delay_alu instid0(VALU_DEP_1) | instskip(NEXT) | instid1(VALU_DEP_1)
	v_lshlrev_b64 v[3:4], 3, v[5:6]
	v_add_co_u32 v3, s2, v19, v3
	s_delay_alu instid0(VALU_DEP_1)
	v_add_co_ci_u32_e64 v4, s2, v20, v4, s2
	global_load_b64 v[3:4], v[3:4], off
.LBB7_11:                               ;   in Loop: Header=BB7_7 Depth=2
	s_or_b32 exec_lo, exec_lo, s9
	s_waitcnt vmcnt(0)
	ds_store_b64 v13, v[3:4]
	s_waitcnt lgkmcnt(0)
	s_barrier
	buffer_gl0_inv
	s_and_saveexec_b32 s2, s7
	s_cbranch_execz .LBB7_6
; %bb.12:                               ;   in Loop: Header=BB7_7 Depth=2
	ds_load_2addr_b64 v[3:6], v11 offset1:32
	ds_load_b128 v[21:24], v10
	ds_load_b128 v[25:28], v10 offset:16
	s_waitcnt lgkmcnt(1)
	v_fma_f64 v[3:4], v[21:22], v[3:4], 0
	s_delay_alu instid0(VALU_DEP_1) | instskip(SKIP_3) | instid1(VALU_DEP_1)
	v_fma_f64 v[21:22], v[23:24], v[5:6], v[3:4]
	ds_load_2addr_b64 v[3:6], v11 offset0:64 offset1:96
	s_waitcnt lgkmcnt(0)
	v_fma_f64 v[3:4], v[25:26], v[3:4], v[21:22]
	v_fma_f64 v[29:30], v[27:28], v[5:6], v[3:4]
	ds_load_2addr_b64 v[3:6], v11 offset0:128 offset1:160
	ds_load_b128 v[21:24], v10 offset:32
	ds_load_b128 v[25:28], v10 offset:48
	s_waitcnt lgkmcnt(1)
	v_fma_f64 v[3:4], v[21:22], v[3:4], v[29:30]
	s_delay_alu instid0(VALU_DEP_1) | instskip(SKIP_3) | instid1(VALU_DEP_1)
	v_fma_f64 v[21:22], v[23:24], v[5:6], v[3:4]
	ds_load_2addr_b64 v[3:6], v11 offset0:192 offset1:224
	s_waitcnt lgkmcnt(0)
	v_fma_f64 v[3:4], v[25:26], v[3:4], v[21:22]
	v_fma_f64 v[29:30], v[27:28], v[5:6], v[3:4]
	ds_load_2addr_b64 v[3:6], v16 offset1:32
	ds_load_b128 v[21:24], v10 offset:64
	ds_load_b128 v[25:28], v10 offset:80
	s_waitcnt lgkmcnt(1)
	v_fma_f64 v[3:4], v[21:22], v[3:4], v[29:30]
	s_delay_alu instid0(VALU_DEP_1) | instskip(SKIP_3) | instid1(VALU_DEP_1)
	v_fma_f64 v[21:22], v[23:24], v[5:6], v[3:4]
	ds_load_2addr_b64 v[3:6], v16 offset0:64 offset1:96
	s_waitcnt lgkmcnt(0)
	v_fma_f64 v[3:4], v[25:26], v[3:4], v[21:22]
	v_fma_f64 v[29:30], v[27:28], v[5:6], v[3:4]
	ds_load_2addr_b64 v[3:6], v16 offset0:128 offset1:160
	ds_load_b128 v[21:24], v10 offset:96
	ds_load_b128 v[25:28], v10 offset:112
	s_waitcnt lgkmcnt(1)
	v_fma_f64 v[3:4], v[21:22], v[3:4], v[29:30]
	s_delay_alu instid0(VALU_DEP_1) | instskip(SKIP_3) | instid1(VALU_DEP_1)
	v_fma_f64 v[21:22], v[23:24], v[5:6], v[3:4]
	ds_load_2addr_b64 v[3:6], v16 offset0:192 offset1:224
	s_waitcnt lgkmcnt(0)
	v_fma_f64 v[3:4], v[25:26], v[3:4], v[21:22]
	v_fma_f64 v[29:30], v[27:28], v[5:6], v[3:4]
	ds_load_2addr_b64 v[3:6], v17 offset1:32
	ds_load_b128 v[21:24], v10 offset:128
	;; [unrolled: 22-line block ×3, first 2 shown]
	global_load_b64 v[31:32], v[1:2], off
	ds_load_b128 v[25:28], v10 offset:208
	s_waitcnt lgkmcnt(1)
	v_fma_f64 v[3:4], v[21:22], v[3:4], v[29:30]
	s_delay_alu instid0(VALU_DEP_1) | instskip(SKIP_3) | instid1(VALU_DEP_1)
	v_fma_f64 v[21:22], v[23:24], v[5:6], v[3:4]
	ds_load_2addr_b64 v[3:6], v18 offset0:64 offset1:96
	s_waitcnt lgkmcnt(0)
	v_fma_f64 v[3:4], v[25:26], v[3:4], v[21:22]
	v_fma_f64 v[29:30], v[27:28], v[5:6], v[3:4]
	ds_load_2addr_b64 v[3:6], v18 offset0:128 offset1:160
	ds_load_b128 v[21:24], v10 offset:224
	ds_load_b128 v[25:28], v10 offset:240
	s_waitcnt lgkmcnt(1)
	v_fma_f64 v[3:4], v[21:22], v[3:4], v[29:30]
	s_delay_alu instid0(VALU_DEP_1) | instskip(SKIP_3) | instid1(VALU_DEP_1)
	v_fma_f64 v[21:22], v[23:24], v[5:6], v[3:4]
	ds_load_2addr_b64 v[3:6], v18 offset0:192 offset1:224
	s_waitcnt lgkmcnt(0)
	v_fma_f64 v[3:4], v[25:26], v[3:4], v[21:22]
	v_fma_f64 v[3:4], v[27:28], v[5:6], v[3:4]
	s_waitcnt vmcnt(0)
	s_delay_alu instid0(VALU_DEP_1)
	v_fma_f64 v[3:4], s[16:17], v[3:4], v[31:32]
	global_store_b64 v[1:2], v[3:4], off
	s_branch .LBB7_6
.LBB7_13:
	s_endpgm
	.section	.rodata,"a",@progbits
	.p2align	6, 0x0
	.amdhsa_kernel _ZL24rocblas_symm_hemm_kernelILb0ELb0ELi32EPKdS1_PdEvbiiT2_T3_lllS4_lllT4_llli
		.amdhsa_group_segment_fixed_size 16384
		.amdhsa_private_segment_fixed_size 0
		.amdhsa_kernarg_size 384
		.amdhsa_user_sgpr_count 13
		.amdhsa_user_sgpr_dispatch_ptr 0
		.amdhsa_user_sgpr_queue_ptr 0
		.amdhsa_user_sgpr_kernarg_segment_ptr 1
		.amdhsa_user_sgpr_dispatch_id 0
		.amdhsa_user_sgpr_private_segment_size 0
		.amdhsa_wavefront_size32 1
		.amdhsa_uses_dynamic_stack 0
		.amdhsa_enable_private_segment 0
		.amdhsa_system_sgpr_workgroup_id_x 1
		.amdhsa_system_sgpr_workgroup_id_y 1
		.amdhsa_system_sgpr_workgroup_id_z 1
		.amdhsa_system_sgpr_workgroup_info 0
		.amdhsa_system_vgpr_workitem_id 1
		.amdhsa_next_free_vgpr 33
		.amdhsa_next_free_sgpr 40
		.amdhsa_reserve_vcc 1
		.amdhsa_float_round_mode_32 0
		.amdhsa_float_round_mode_16_64 0
		.amdhsa_float_denorm_mode_32 3
		.amdhsa_float_denorm_mode_16_64 3
		.amdhsa_dx10_clamp 1
		.amdhsa_ieee_mode 1
		.amdhsa_fp16_overflow 0
		.amdhsa_workgroup_processor_mode 1
		.amdhsa_memory_ordered 1
		.amdhsa_forward_progress 0
		.amdhsa_shared_vgpr_count 0
		.amdhsa_exception_fp_ieee_invalid_op 0
		.amdhsa_exception_fp_denorm_src 0
		.amdhsa_exception_fp_ieee_div_zero 0
		.amdhsa_exception_fp_ieee_overflow 0
		.amdhsa_exception_fp_ieee_underflow 0
		.amdhsa_exception_fp_ieee_inexact 0
		.amdhsa_exception_int_div_zero 0
	.end_amdhsa_kernel
	.section	.text._ZL24rocblas_symm_hemm_kernelILb0ELb0ELi32EPKdS1_PdEvbiiT2_T3_lllS4_lllT4_llli,"axG",@progbits,_ZL24rocblas_symm_hemm_kernelILb0ELb0ELi32EPKdS1_PdEvbiiT2_T3_lllS4_lllT4_llli,comdat
.Lfunc_end7:
	.size	_ZL24rocblas_symm_hemm_kernelILb0ELb0ELi32EPKdS1_PdEvbiiT2_T3_lllS4_lllT4_llli, .Lfunc_end7-_ZL24rocblas_symm_hemm_kernelILb0ELb0ELi32EPKdS1_PdEvbiiT2_T3_lllS4_lllT4_llli
                                        ; -- End function
	.section	.AMDGPU.csdata,"",@progbits
; Kernel info:
; codeLenInByte = 1568
; NumSgprs: 42
; NumVgprs: 33
; ScratchSize: 0
; MemoryBound: 0
; FloatMode: 240
; IeeeMode: 1
; LDSByteSize: 16384 bytes/workgroup (compile time only)
; SGPRBlocks: 5
; VGPRBlocks: 4
; NumSGPRsForWavesPerEU: 42
; NumVGPRsForWavesPerEU: 33
; Occupancy: 16
; WaveLimiterHint : 0
; COMPUTE_PGM_RSRC2:SCRATCH_EN: 0
; COMPUTE_PGM_RSRC2:USER_SGPR: 13
; COMPUTE_PGM_RSRC2:TRAP_HANDLER: 0
; COMPUTE_PGM_RSRC2:TGID_X_EN: 1
; COMPUTE_PGM_RSRC2:TGID_Y_EN: 1
; COMPUTE_PGM_RSRC2:TGID_Z_EN: 1
; COMPUTE_PGM_RSRC2:TIDIG_COMP_CNT: 1
	.section	.text._ZL24rocblas_symm_hemm_kernelILb0ELb1ELi32EPKdS1_PdEvbiiT2_T3_lllS4_lllT4_llli,"axG",@progbits,_ZL24rocblas_symm_hemm_kernelILb0ELb1ELi32EPKdS1_PdEvbiiT2_T3_lllS4_lllT4_llli,comdat
	.globl	_ZL24rocblas_symm_hemm_kernelILb0ELb1ELi32EPKdS1_PdEvbiiT2_T3_lllS4_lllT4_llli ; -- Begin function _ZL24rocblas_symm_hemm_kernelILb0ELb1ELi32EPKdS1_PdEvbiiT2_T3_lllS4_lllT4_llli
	.p2align	8
	.type	_ZL24rocblas_symm_hemm_kernelILb0ELb1ELi32EPKdS1_PdEvbiiT2_T3_lllS4_lllT4_llli,@function
_ZL24rocblas_symm_hemm_kernelILb0ELb1ELi32EPKdS1_PdEvbiiT2_T3_lllS4_lllT4_llli: ; @_ZL24rocblas_symm_hemm_kernelILb0ELb1ELi32EPKdS1_PdEvbiiT2_T3_lllS4_lllT4_llli
; %bb.0:
	s_load_b512 s[16:31], s[0:1], 0x10
	s_waitcnt lgkmcnt(0)
	s_load_b64 s[16:17], s[16:17], 0x0
	s_waitcnt lgkmcnt(0)
	v_cmp_eq_f64_e64 s2, s[16:17], 0
	s_delay_alu instid0(VALU_DEP_1)
	s_and_b32 vcc_lo, exec_lo, s2
	s_cbranch_vccnz .LBB8_13
; %bb.1:
	s_load_b128 s[36:39], s[0:1], 0x0
	s_waitcnt lgkmcnt(0)
	s_add_i32 s2, s38, -1
	s_delay_alu instid0(SALU_CYCLE_1) | instskip(NEXT) | instid1(SALU_CYCLE_1)
	s_ashr_i32 s3, s2, 31
	s_lshr_b32 s3, s3, 27
	s_delay_alu instid0(SALU_CYCLE_1) | instskip(NEXT) | instid1(SALU_CYCLE_1)
	s_add_i32 s2, s2, s3
	s_ashr_i32 s3, s2, 5
	s_delay_alu instid0(SALU_CYCLE_1)
	s_cmp_gt_i32 s14, s3
	s_cbranch_scc1 .LBB8_13
; %bb.2:
	s_clause 0x1
	s_load_b64 s[34:35], s[0:1], 0x70
	s_load_b256 s[4:11], s[0:1], 0x50
	s_mul_i32 s2, s15, s25
	s_mul_hi_u32 s12, s15, s24
	s_mul_i32 s24, s15, s24
	s_add_i32 s25, s12, s2
	s_load_b32 s12, s[0:1], 0x84
	s_lshl_b64 s[24:25], s[24:25], 3
	v_and_b32_e32 v7, 0x3ff, v0
	s_add_u32 s2, s18, s24
	s_addc_u32 s24, s19, s25
	s_lshl_b64 s[18:19], s[20:21], 3
	v_bfe_u32 v8, v0, 10, 10
	s_add_u32 s18, s2, s18
	s_addc_u32 s19, s24, s19
	s_bitcmp1_b32 s36, 0
	v_lshl_add_u32 v1, s13, 5, v7
	s_cselect_b32 s0, -1, 0
	v_lshlrev_b32_e32 v0, 3, v8
	v_lshlrev_b32_e32 v9, 8, v7
	s_waitcnt lgkmcnt(0)
	s_mul_i32 s1, s15, s35
	s_mul_hi_u32 s2, s15, s34
	s_mul_i32 s20, s15, s34
	s_add_i32 s21, s2, s1
	s_mul_i32 s1, s15, s5
	s_lshl_b64 s[20:21], s[20:21], 3
	s_mul_hi_u32 s2, s15, s4
	s_add_u32 s5, s6, s20
	s_addc_u32 s13, s7, s21
	s_lshl_b64 s[6:7], s[8:9], 3
	v_ashrrev_i32_e32 v2, 31, v1
	s_add_u32 s6, s5, s6
	s_mul_i32 s4, s15, s4
	s_addc_u32 s7, s13, s7
	s_add_i32 s5, s2, s1
	v_lshlrev_b64 v[2:3], 3, v[1:2]
	s_lshl_b64 s[4:5], s[4:5], 3
	v_or_b32_e32 v10, 0x2000, v0
	s_add_u32 s1, s26, s4
	s_addc_u32 s2, s27, s5
	s_lshl_b64 s[4:5], s[28:29], 3
	v_add_nc_u32_e32 v13, v9, v0
	s_add_u32 s4, s1, s4
	s_addc_u32 s2, s2, s5
	v_add_co_u32 v11, vcc_lo, s4, v2
	v_add_co_ci_u32_e32 v12, vcc_lo, s2, v3, vcc_lo
	v_add_co_u32 v15, vcc_lo, s6, v2
	v_cmp_gt_i32_e64 s1, s37, v1
	v_add_nc_u32_e32 v14, v10, v9
	v_add_co_ci_u32_e32 v16, vcc_lo, s7, v3, vcc_lo
	v_add_nc_u32_e32 v17, 0x800, v10
	v_add_nc_u32_e32 v18, 0x1000, v10
	v_add_nc_u32_e32 v19, 0x1800, v10
	s_cmp_gt_i32 s38, 0
	s_cselect_b32 s4, -1, 0
	s_branch .LBB8_4
.LBB8_3:                                ;   in Loop: Header=BB8_4 Depth=1
	s_add_i32 s14, s14, s12
	s_delay_alu instid0(SALU_CYCLE_1)
	s_cmp_gt_i32 s14, s3
	s_cbranch_scc1 .LBB8_13
.LBB8_4:                                ; =>This Loop Header: Depth=1
                                        ;     Child Loop BB8_7 Depth 2
	s_and_not1_b32 vcc_lo, exec_lo, s4
	s_cbranch_vccnz .LBB8_3
; %bb.5:                                ;   in Loop: Header=BB8_4 Depth=1
	v_lshl_add_u32 v20, s14, 5, v8
	s_mov_b32 s5, 0
	s_delay_alu instid0(VALU_DEP_1) | instskip(SKIP_3) | instid1(VALU_DEP_4)
	v_ashrrev_i32_e32 v2, 31, v20
	v_mul_lo_u32 v3, v20, s11
	v_mad_u64_u32 v[0:1], null, v20, s10, 0
	v_cmp_gt_i32_e32 vcc_lo, s38, v20
	v_mul_lo_u32 v2, v2, s10
	s_delay_alu instid0(VALU_DEP_1) | instskip(NEXT) | instid1(VALU_DEP_1)
	v_add3_u32 v1, v1, v3, v2
	v_lshlrev_b64 v[0:1], 3, v[0:1]
	s_delay_alu instid0(VALU_DEP_1) | instskip(NEXT) | instid1(VALU_DEP_1)
	v_add_co_u32 v0, s2, v15, v0
	v_add_co_ci_u32_e64 v1, s2, v16, v1, s2
	s_and_b32 s2, s1, vcc_lo
	s_branch .LBB8_7
.LBB8_6:                                ;   in Loop: Header=BB8_7 Depth=2
	s_or_b32 exec_lo, exec_lo, s6
	s_add_i32 s5, s5, 32
	s_waitcnt_vscnt null, 0x0
	s_cmp_ge_i32 s5, s38
	s_barrier
	buffer_gl0_inv
	s_cbranch_scc1 .LBB8_3
.LBB8_7:                                ;   Parent Loop BB8_4 Depth=1
                                        ; =>  This Inner Loop Header: Depth=2
	v_add_nc_u32_e32 v4, s5, v8
	v_mov_b32_e32 v2, 0
	v_mov_b32_e32 v3, 0
	s_delay_alu instid0(VALU_DEP_3) | instskip(NEXT) | instid1(VALU_DEP_2)
	v_cmp_gt_i32_e32 vcc_lo, s38, v4
	v_dual_mov_b32 v6, v3 :: v_dual_mov_b32 v5, v2
	s_and_b32 s7, s1, vcc_lo
	s_delay_alu instid0(SALU_CYCLE_1)
	s_and_saveexec_b32 s6, s7
	s_cbranch_execz .LBB8_9
; %bb.8:                                ;   in Loop: Header=BB8_7 Depth=2
	v_ashrrev_i32_e32 v21, 31, v4
	v_mul_lo_u32 v22, v4, s31
	v_mad_u64_u32 v[5:6], null, v4, s30, 0
	s_delay_alu instid0(VALU_DEP_3) | instskip(NEXT) | instid1(VALU_DEP_1)
	v_mul_lo_u32 v4, v21, s30
	v_add3_u32 v6, v6, v22, v4
	s_delay_alu instid0(VALU_DEP_1) | instskip(NEXT) | instid1(VALU_DEP_1)
	v_lshlrev_b64 v[4:5], 3, v[5:6]
	v_add_co_u32 v4, vcc_lo, v11, v4
	s_delay_alu instid0(VALU_DEP_2)
	v_add_co_ci_u32_e32 v5, vcc_lo, v12, v5, vcc_lo
	global_load_b64 v[5:6], v[4:5], off
.LBB8_9:                                ;   in Loop: Header=BB8_7 Depth=2
	s_or_b32 exec_lo, exec_lo, s6
	v_add_nc_u32_e32 v21, s5, v7
	s_mov_b32 s6, exec_lo
	s_waitcnt vmcnt(0)
	ds_store_b64 v13, v[5:6]
	v_cndmask_b32_e64 v4, v20, v21, s0
	v_cndmask_b32_e64 v22, v21, v20, s0
	s_delay_alu instid0(VALU_DEP_1) | instskip(SKIP_1) | instid1(VALU_DEP_1)
	v_cmp_gt_i32_e32 vcc_lo, v4, v22
	v_dual_cndmask_b32 v4, v21, v20 :: v_dual_cndmask_b32 v21, v20, v21
	v_max_i32_e32 v22, v4, v21
	s_delay_alu instid0(VALU_DEP_1)
	v_cmpx_gt_i32_e64 s38, v22
	s_cbranch_execz .LBB8_11
; %bb.10:                               ;   in Loop: Header=BB8_7 Depth=2
	v_ashrrev_i32_e32 v5, 31, v21
	v_mul_lo_u32 v6, v21, s23
	v_mad_u64_u32 v[2:3], null, v21, s22, 0
	s_delay_alu instid0(VALU_DEP_3) | instskip(NEXT) | instid1(VALU_DEP_1)
	v_mul_lo_u32 v5, v5, s22
	v_add3_u32 v3, v3, v6, v5
	v_ashrrev_i32_e32 v5, 31, v4
	s_delay_alu instid0(VALU_DEP_2) | instskip(NEXT) | instid1(VALU_DEP_2)
	v_lshlrev_b64 v[2:3], 3, v[2:3]
	v_lshlrev_b64 v[4:5], 3, v[4:5]
	s_delay_alu instid0(VALU_DEP_2) | instskip(NEXT) | instid1(VALU_DEP_3)
	v_add_co_u32 v2, vcc_lo, s18, v2
	v_add_co_ci_u32_e32 v3, vcc_lo, s19, v3, vcc_lo
	s_delay_alu instid0(VALU_DEP_2) | instskip(NEXT) | instid1(VALU_DEP_2)
	v_add_co_u32 v2, vcc_lo, v2, v4
	v_add_co_ci_u32_e32 v3, vcc_lo, v3, v5, vcc_lo
	global_load_b64 v[2:3], v[2:3], off
.LBB8_11:                               ;   in Loop: Header=BB8_7 Depth=2
	s_or_b32 exec_lo, exec_lo, s6
	s_waitcnt vmcnt(0)
	ds_store_b64 v14, v[2:3]
	s_waitcnt lgkmcnt(0)
	s_barrier
	buffer_gl0_inv
	s_and_saveexec_b32 s6, s2
	s_cbranch_execz .LBB8_6
; %bb.12:                               ;   in Loop: Header=BB8_7 Depth=2
	ds_load_2addr_b64 v[2:5], v10 offset1:32
	ds_load_b128 v[21:24], v9
	ds_load_b128 v[25:28], v9 offset:16
	s_waitcnt lgkmcnt(1)
	v_fma_f64 v[2:3], v[21:22], v[2:3], 0
	s_delay_alu instid0(VALU_DEP_1) | instskip(SKIP_3) | instid1(VALU_DEP_1)
	v_fma_f64 v[21:22], v[23:24], v[4:5], v[2:3]
	ds_load_2addr_b64 v[2:5], v10 offset0:64 offset1:96
	s_waitcnt lgkmcnt(0)
	v_fma_f64 v[2:3], v[25:26], v[2:3], v[21:22]
	v_fma_f64 v[29:30], v[27:28], v[4:5], v[2:3]
	ds_load_2addr_b64 v[2:5], v10 offset0:128 offset1:160
	ds_load_b128 v[21:24], v9 offset:32
	ds_load_b128 v[25:28], v9 offset:48
	s_waitcnt lgkmcnt(1)
	v_fma_f64 v[2:3], v[21:22], v[2:3], v[29:30]
	s_delay_alu instid0(VALU_DEP_1) | instskip(SKIP_3) | instid1(VALU_DEP_1)
	v_fma_f64 v[21:22], v[23:24], v[4:5], v[2:3]
	ds_load_2addr_b64 v[2:5], v10 offset0:192 offset1:224
	s_waitcnt lgkmcnt(0)
	v_fma_f64 v[2:3], v[25:26], v[2:3], v[21:22]
	v_fma_f64 v[29:30], v[27:28], v[4:5], v[2:3]
	ds_load_2addr_b64 v[2:5], v17 offset1:32
	ds_load_b128 v[21:24], v9 offset:64
	ds_load_b128 v[25:28], v9 offset:80
	s_waitcnt lgkmcnt(1)
	v_fma_f64 v[2:3], v[21:22], v[2:3], v[29:30]
	s_delay_alu instid0(VALU_DEP_1) | instskip(SKIP_3) | instid1(VALU_DEP_1)
	v_fma_f64 v[21:22], v[23:24], v[4:5], v[2:3]
	ds_load_2addr_b64 v[2:5], v17 offset0:64 offset1:96
	s_waitcnt lgkmcnt(0)
	v_fma_f64 v[2:3], v[25:26], v[2:3], v[21:22]
	v_fma_f64 v[29:30], v[27:28], v[4:5], v[2:3]
	ds_load_2addr_b64 v[2:5], v17 offset0:128 offset1:160
	ds_load_b128 v[21:24], v9 offset:96
	ds_load_b128 v[25:28], v9 offset:112
	s_waitcnt lgkmcnt(1)
	v_fma_f64 v[2:3], v[21:22], v[2:3], v[29:30]
	s_delay_alu instid0(VALU_DEP_1) | instskip(SKIP_3) | instid1(VALU_DEP_1)
	v_fma_f64 v[21:22], v[23:24], v[4:5], v[2:3]
	ds_load_2addr_b64 v[2:5], v17 offset0:192 offset1:224
	s_waitcnt lgkmcnt(0)
	v_fma_f64 v[2:3], v[25:26], v[2:3], v[21:22]
	v_fma_f64 v[29:30], v[27:28], v[4:5], v[2:3]
	ds_load_2addr_b64 v[2:5], v18 offset1:32
	ds_load_b128 v[21:24], v9 offset:128
	;; [unrolled: 22-line block ×3, first 2 shown]
	global_load_b64 v[31:32], v[0:1], off
	ds_load_b128 v[25:28], v9 offset:208
	s_waitcnt lgkmcnt(1)
	v_fma_f64 v[2:3], v[21:22], v[2:3], v[29:30]
	s_delay_alu instid0(VALU_DEP_1) | instskip(SKIP_3) | instid1(VALU_DEP_1)
	v_fma_f64 v[21:22], v[23:24], v[4:5], v[2:3]
	ds_load_2addr_b64 v[2:5], v19 offset0:64 offset1:96
	s_waitcnt lgkmcnt(0)
	v_fma_f64 v[2:3], v[25:26], v[2:3], v[21:22]
	v_fma_f64 v[29:30], v[27:28], v[4:5], v[2:3]
	ds_load_2addr_b64 v[2:5], v19 offset0:128 offset1:160
	ds_load_b128 v[21:24], v9 offset:224
	ds_load_b128 v[25:28], v9 offset:240
	s_waitcnt lgkmcnt(1)
	v_fma_f64 v[2:3], v[21:22], v[2:3], v[29:30]
	s_delay_alu instid0(VALU_DEP_1) | instskip(SKIP_3) | instid1(VALU_DEP_1)
	v_fma_f64 v[21:22], v[23:24], v[4:5], v[2:3]
	ds_load_2addr_b64 v[2:5], v19 offset0:192 offset1:224
	s_waitcnt lgkmcnt(0)
	v_fma_f64 v[2:3], v[25:26], v[2:3], v[21:22]
	v_fma_f64 v[2:3], v[27:28], v[4:5], v[2:3]
	s_waitcnt vmcnt(0)
	s_delay_alu instid0(VALU_DEP_1)
	v_fma_f64 v[2:3], s[16:17], v[2:3], v[31:32]
	global_store_b64 v[0:1], v[2:3], off
	s_branch .LBB8_6
.LBB8_13:
	s_endpgm
	.section	.rodata,"a",@progbits
	.p2align	6, 0x0
	.amdhsa_kernel _ZL24rocblas_symm_hemm_kernelILb0ELb1ELi32EPKdS1_PdEvbiiT2_T3_lllS4_lllT4_llli
		.amdhsa_group_segment_fixed_size 16384
		.amdhsa_private_segment_fixed_size 0
		.amdhsa_kernarg_size 384
		.amdhsa_user_sgpr_count 13
		.amdhsa_user_sgpr_dispatch_ptr 0
		.amdhsa_user_sgpr_queue_ptr 0
		.amdhsa_user_sgpr_kernarg_segment_ptr 1
		.amdhsa_user_sgpr_dispatch_id 0
		.amdhsa_user_sgpr_private_segment_size 0
		.amdhsa_wavefront_size32 1
		.amdhsa_uses_dynamic_stack 0
		.amdhsa_enable_private_segment 0
		.amdhsa_system_sgpr_workgroup_id_x 1
		.amdhsa_system_sgpr_workgroup_id_y 1
		.amdhsa_system_sgpr_workgroup_id_z 1
		.amdhsa_system_sgpr_workgroup_info 0
		.amdhsa_system_vgpr_workitem_id 1
		.amdhsa_next_free_vgpr 33
		.amdhsa_next_free_sgpr 40
		.amdhsa_reserve_vcc 1
		.amdhsa_float_round_mode_32 0
		.amdhsa_float_round_mode_16_64 0
		.amdhsa_float_denorm_mode_32 3
		.amdhsa_float_denorm_mode_16_64 3
		.amdhsa_dx10_clamp 1
		.amdhsa_ieee_mode 1
		.amdhsa_fp16_overflow 0
		.amdhsa_workgroup_processor_mode 1
		.amdhsa_memory_ordered 1
		.amdhsa_forward_progress 0
		.amdhsa_shared_vgpr_count 0
		.amdhsa_exception_fp_ieee_invalid_op 0
		.amdhsa_exception_fp_denorm_src 0
		.amdhsa_exception_fp_ieee_div_zero 0
		.amdhsa_exception_fp_ieee_overflow 0
		.amdhsa_exception_fp_ieee_underflow 0
		.amdhsa_exception_fp_ieee_inexact 0
		.amdhsa_exception_int_div_zero 0
	.end_amdhsa_kernel
	.section	.text._ZL24rocblas_symm_hemm_kernelILb0ELb1ELi32EPKdS1_PdEvbiiT2_T3_lllS4_lllT4_llli,"axG",@progbits,_ZL24rocblas_symm_hemm_kernelILb0ELb1ELi32EPKdS1_PdEvbiiT2_T3_lllS4_lllT4_llli,comdat
.Lfunc_end8:
	.size	_ZL24rocblas_symm_hemm_kernelILb0ELb1ELi32EPKdS1_PdEvbiiT2_T3_lllS4_lllT4_llli, .Lfunc_end8-_ZL24rocblas_symm_hemm_kernelILb0ELb1ELi32EPKdS1_PdEvbiiT2_T3_lllS4_lllT4_llli
                                        ; -- End function
	.section	.AMDGPU.csdata,"",@progbits
; Kernel info:
; codeLenInByte = 1524
; NumSgprs: 42
; NumVgprs: 33
; ScratchSize: 0
; MemoryBound: 0
; FloatMode: 240
; IeeeMode: 1
; LDSByteSize: 16384 bytes/workgroup (compile time only)
; SGPRBlocks: 5
; VGPRBlocks: 4
; NumSGPRsForWavesPerEU: 42
; NumVGPRsForWavesPerEU: 33
; Occupancy: 16
; WaveLimiterHint : 0
; COMPUTE_PGM_RSRC2:SCRATCH_EN: 0
; COMPUTE_PGM_RSRC2:USER_SGPR: 13
; COMPUTE_PGM_RSRC2:TRAP_HANDLER: 0
; COMPUTE_PGM_RSRC2:TGID_X_EN: 1
; COMPUTE_PGM_RSRC2:TGID_Y_EN: 1
; COMPUTE_PGM_RSRC2:TGID_Z_EN: 1
; COMPUTE_PGM_RSRC2:TIDIG_COMP_CNT: 1
	.section	.text._ZL25rocblas_symm_scale_kernelILi128ELi8EdPdEviiT1_T2_llli,"axG",@progbits,_ZL25rocblas_symm_scale_kernelILi128ELi8EdPdEviiT1_T2_llli,comdat
	.globl	_ZL25rocblas_symm_scale_kernelILi128ELi8EdPdEviiT1_T2_llli ; -- Begin function _ZL25rocblas_symm_scale_kernelILi128ELi8EdPdEviiT1_T2_llli
	.p2align	8
	.type	_ZL25rocblas_symm_scale_kernelILi128ELi8EdPdEviiT1_T2_llli,@function
_ZL25rocblas_symm_scale_kernelILi128ELi8EdPdEviiT1_T2_llli: ; @_ZL25rocblas_symm_scale_kernelILi128ELi8EdPdEviiT1_T2_llli
; %bb.0:
	s_load_b256 s[4:11], s[0:1], 0x8
	s_waitcnt lgkmcnt(0)
	v_cmp_eq_f64_e64 s2, s[4:5], 1.0
	s_delay_alu instid0(VALU_DEP_1)
	s_and_b32 vcc_lo, exec_lo, s2
	s_cbranch_vccnz .LBB9_7
; %bb.1:
	s_load_b64 s[2:3], s[0:1], 0x0
	v_bfe_u32 v2, v0, 10, 10
	v_and_b32_e32 v3, 0x3ff, v0
	v_mov_b32_e32 v1, 0
	s_delay_alu instid0(VALU_DEP_3) | instskip(NEXT) | instid1(VALU_DEP_3)
	v_lshl_add_u32 v0, s14, 3, v2
	v_lshl_add_u32 v2, s13, 7, v3
	s_waitcnt lgkmcnt(0)
	s_ashr_i32 s13, s3, 31
	s_mov_b32 s12, s3
	s_delay_alu instid0(VALU_DEP_1) | instskip(SKIP_1) | instid1(VALU_DEP_2)
	v_cmp_gt_u32_e64 s2, s2, v2
	v_cmp_gt_i64_e32 vcc_lo, s[12:13], v[0:1]
	s_and_b32 s2, s2, vcc_lo
	s_delay_alu instid0(SALU_CYCLE_1)
	s_and_saveexec_b32 s3, s2
	s_cbranch_execz .LBB9_7
; %bb.2:
	s_clause 0x1
	s_load_b32 s14, s[0:1], 0x3c
	s_load_b64 s[2:3], s[0:1], 0x28
	v_mad_u64_u32 v[4:5], null, s10, v0, 0
	s_lshl_b64 s[8:9], s[8:9], 3
	s_delay_alu instid0(VALU_DEP_1) | instskip(NEXT) | instid1(VALU_DEP_1)
	v_mov_b32_e32 v3, v5
	v_mad_u64_u32 v[5:6], null, s11, v0, v[3:4]
	v_mov_b32_e32 v3, v1
	s_waitcnt lgkmcnt(0)
	s_lshl_b32 s1, s14, 3
	s_mul_i32 s0, s3, s15
	s_mul_hi_u32 s3, s2, s15
	s_mul_i32 s2, s2, s15
	s_add_i32 s3, s3, s0
	v_lshlrev_b64 v[4:5], 3, v[4:5]
	s_lshl_b64 s[2:3], s[2:3], 3
	v_lshlrev_b64 v[2:3], 3, v[2:3]
	s_add_u32 s2, s8, s2
	s_addc_u32 s3, s9, s3
	s_mul_i32 s0, s11, s1
	v_add_co_u32 v4, vcc_lo, s2, v4
	v_add_co_ci_u32_e32 v5, vcc_lo, s3, v5, vcc_lo
	s_mul_hi_u32 s2, s10, s1
	s_delay_alu instid0(VALU_DEP_2) | instskip(NEXT) | instid1(VALU_DEP_2)
	v_add_co_u32 v2, vcc_lo, v4, v2
	v_add_co_ci_u32_e32 v3, vcc_lo, v5, v3, vcc_lo
	s_add_i32 s3, s2, s0
	s_delay_alu instid0(VALU_DEP_2) | instskip(SKIP_1) | instid1(VALU_DEP_3)
	v_add_co_u32 v2, vcc_lo, s6, v2
	v_cmp_neq_f64_e64 s6, s[4:5], 0
	v_add_co_ci_u32_e32 v3, vcc_lo, s7, v3, vcc_lo
	s_mul_i32 s2, s10, s1
	s_mov_b32 s7, 0
	s_lshl_b64 s[2:3], s[2:3], 3
	s_branch .LBB9_5
	.p2align	6
.LBB9_3:                                ;   in Loop: Header=BB9_5 Depth=1
	global_load_b64 v[4:5], v[2:3], off
	s_waitcnt vmcnt(0)
	v_mul_f64 v[4:5], v[4:5], s[4:5]
.LBB9_4:                                ;   in Loop: Header=BB9_5 Depth=1
	v_add_co_u32 v0, vcc_lo, v0, s1
	v_add_co_ci_u32_e32 v1, vcc_lo, 0, v1, vcc_lo
	global_store_b64 v[2:3], v[4:5], off
	v_add_co_u32 v2, s0, v2, s2
	v_cmp_le_i64_e32 vcc_lo, s[12:13], v[0:1]
	v_add_co_ci_u32_e64 v3, s0, s3, v3, s0
	s_or_b32 s7, vcc_lo, s7
	s_delay_alu instid0(SALU_CYCLE_1)
	s_and_not1_b32 exec_lo, exec_lo, s7
	s_cbranch_execz .LBB9_7
.LBB9_5:                                ; =>This Inner Loop Header: Depth=1
	s_delay_alu instid0(VALU_DEP_2)
	s_and_not1_b32 vcc_lo, exec_lo, s6
	s_cbranch_vccz .LBB9_3
; %bb.6:                                ;   in Loop: Header=BB9_5 Depth=1
	v_mov_b32_e32 v4, 0
	v_mov_b32_e32 v5, 0
	s_branch .LBB9_4
.LBB9_7:
	s_nop 0
	s_sendmsg sendmsg(MSG_DEALLOC_VGPRS)
	s_endpgm
	.section	.rodata,"a",@progbits
	.p2align	6, 0x0
	.amdhsa_kernel _ZL25rocblas_symm_scale_kernelILi128ELi8EdPdEviiT1_T2_llli
		.amdhsa_group_segment_fixed_size 0
		.amdhsa_private_segment_fixed_size 0
		.amdhsa_kernarg_size 312
		.amdhsa_user_sgpr_count 13
		.amdhsa_user_sgpr_dispatch_ptr 0
		.amdhsa_user_sgpr_queue_ptr 0
		.amdhsa_user_sgpr_kernarg_segment_ptr 1
		.amdhsa_user_sgpr_dispatch_id 0
		.amdhsa_user_sgpr_private_segment_size 0
		.amdhsa_wavefront_size32 1
		.amdhsa_uses_dynamic_stack 0
		.amdhsa_enable_private_segment 0
		.amdhsa_system_sgpr_workgroup_id_x 1
		.amdhsa_system_sgpr_workgroup_id_y 1
		.amdhsa_system_sgpr_workgroup_id_z 1
		.amdhsa_system_sgpr_workgroup_info 0
		.amdhsa_system_vgpr_workitem_id 1
		.amdhsa_next_free_vgpr 7
		.amdhsa_next_free_sgpr 16
		.amdhsa_reserve_vcc 1
		.amdhsa_float_round_mode_32 0
		.amdhsa_float_round_mode_16_64 0
		.amdhsa_float_denorm_mode_32 3
		.amdhsa_float_denorm_mode_16_64 3
		.amdhsa_dx10_clamp 1
		.amdhsa_ieee_mode 1
		.amdhsa_fp16_overflow 0
		.amdhsa_workgroup_processor_mode 1
		.amdhsa_memory_ordered 1
		.amdhsa_forward_progress 0
		.amdhsa_shared_vgpr_count 0
		.amdhsa_exception_fp_ieee_invalid_op 0
		.amdhsa_exception_fp_denorm_src 0
		.amdhsa_exception_fp_ieee_div_zero 0
		.amdhsa_exception_fp_ieee_overflow 0
		.amdhsa_exception_fp_ieee_underflow 0
		.amdhsa_exception_fp_ieee_inexact 0
		.amdhsa_exception_int_div_zero 0
	.end_amdhsa_kernel
	.section	.text._ZL25rocblas_symm_scale_kernelILi128ELi8EdPdEviiT1_T2_llli,"axG",@progbits,_ZL25rocblas_symm_scale_kernelILi128ELi8EdPdEviiT1_T2_llli,comdat
.Lfunc_end9:
	.size	_ZL25rocblas_symm_scale_kernelILi128ELi8EdPdEviiT1_T2_llli, .Lfunc_end9-_ZL25rocblas_symm_scale_kernelILi128ELi8EdPdEviiT1_T2_llli
                                        ; -- End function
	.section	.AMDGPU.csdata,"",@progbits
; Kernel info:
; codeLenInByte = 420
; NumSgprs: 18
; NumVgprs: 7
; ScratchSize: 0
; MemoryBound: 1
; FloatMode: 240
; IeeeMode: 1
; LDSByteSize: 0 bytes/workgroup (compile time only)
; SGPRBlocks: 2
; VGPRBlocks: 0
; NumSGPRsForWavesPerEU: 18
; NumVGPRsForWavesPerEU: 7
; Occupancy: 16
; WaveLimiterHint : 0
; COMPUTE_PGM_RSRC2:SCRATCH_EN: 0
; COMPUTE_PGM_RSRC2:USER_SGPR: 13
; COMPUTE_PGM_RSRC2:TRAP_HANDLER: 0
; COMPUTE_PGM_RSRC2:TGID_X_EN: 1
; COMPUTE_PGM_RSRC2:TGID_Y_EN: 1
; COMPUTE_PGM_RSRC2:TGID_Z_EN: 1
; COMPUTE_PGM_RSRC2:TIDIG_COMP_CNT: 1
	.section	.text._ZL24rocblas_symm_hemm_kernelILb0ELb0ELi32EdPKdPdEvbiiT2_T3_lllS4_lllT4_llli,"axG",@progbits,_ZL24rocblas_symm_hemm_kernelILb0ELb0ELi32EdPKdPdEvbiiT2_T3_lllS4_lllT4_llli,comdat
	.globl	_ZL24rocblas_symm_hemm_kernelILb0ELb0ELi32EdPKdPdEvbiiT2_T3_lllS4_lllT4_llli ; -- Begin function _ZL24rocblas_symm_hemm_kernelILb0ELb0ELi32EdPKdPdEvbiiT2_T3_lllS4_lllT4_llli
	.p2align	8
	.type	_ZL24rocblas_symm_hemm_kernelILb0ELb0ELi32EdPKdPdEvbiiT2_T3_lllS4_lllT4_llli,@function
_ZL24rocblas_symm_hemm_kernelILb0ELb0ELi32EdPKdPdEvbiiT2_T3_lllS4_lllT4_llli: ; @_ZL24rocblas_symm_hemm_kernelILb0ELb0ELi32EdPKdPdEvbiiT2_T3_lllS4_lllT4_llli
; %bb.0:
	s_load_b512 s[16:31], s[0:1], 0x10
	s_waitcnt lgkmcnt(0)
	v_cmp_eq_f64_e64 s2, s[16:17], 0
	s_delay_alu instid0(VALU_DEP_1)
	s_and_b32 vcc_lo, exec_lo, s2
	s_cbranch_vccnz .LBB10_13
; %bb.1:
	s_load_b128 s[36:39], s[0:1], 0x0
	s_waitcnt lgkmcnt(0)
	s_add_i32 s2, s38, -1
	s_delay_alu instid0(SALU_CYCLE_1) | instskip(NEXT) | instid1(SALU_CYCLE_1)
	s_ashr_i32 s3, s2, 31
	s_lshr_b32 s3, s3, 27
	s_delay_alu instid0(SALU_CYCLE_1) | instskip(NEXT) | instid1(SALU_CYCLE_1)
	s_add_i32 s2, s2, s3
	s_ashr_i32 s3, s2, 5
	s_delay_alu instid0(SALU_CYCLE_1)
	s_cmp_gt_i32 s14, s3
	s_cbranch_scc1 .LBB10_13
; %bb.2:
	s_load_b256 s[4:11], s[0:1], 0x50
	s_mul_i32 s2, s15, s25
	s_mul_hi_u32 s12, s15, s24
	s_load_b64 s[34:35], s[0:1], 0x70
	s_mul_i32 s24, s15, s24
	s_add_i32 s25, s12, s2
	s_load_b32 s12, s[0:1], 0x84
	v_and_b32_e32 v8, 0x3ff, v0
	s_lshl_b64 s[24:25], s[24:25], 3
	v_bfe_u32 v9, v0, 10, 10
	s_add_u32 s2, s18, s24
	s_addc_u32 s18, s19, s25
	s_lshl_b64 s[0:1], s[20:21], 3
	v_lshl_add_u32 v0, s13, 5, v8
	s_add_u32 s13, s2, s0
	s_addc_u32 s18, s18, s1
	v_lshlrev_b32_e32 v3, 3, v9
	v_lshlrev_b32_e32 v10, 8, v8
	v_ashrrev_i32_e32 v1, 31, v0
	s_waitcnt lgkmcnt(0)
	s_mul_i32 s1, s15, s5
	s_mul_hi_u32 s2, s15, s4
	s_mul_i32 s0, s15, s4
	s_add_i32 s1, s2, s1
	s_mul_i32 s2, s15, s35
	s_lshl_b64 s[0:1], s[0:1], 3
	s_mul_hi_u32 s19, s15, s34
	s_add_u32 s4, s26, s0
	s_addc_u32 s5, s27, s1
	s_lshl_b64 s[0:1], s[28:29], 3
	s_mul_i32 s20, s15, s34
	s_add_u32 s4, s4, s0
	s_addc_u32 s5, s5, s1
	s_bitcmp1_b32 s36, 0
	v_lshlrev_b64 v[1:2], 3, v[0:1]
	s_cselect_b32 s0, -1, 0
	s_add_i32 s21, s19, s2
	v_or_b32_e32 v11, 0x2000, v3
	s_lshl_b64 s[20:21], s[20:21], 3
	v_add_nc_u32_e32 v12, v10, v3
	s_add_u32 s1, s6, s20
	s_addc_u32 s2, s7, s21
	s_lshl_b64 s[6:7], s[8:9], 3
	v_add_nc_u32_e32 v13, v11, v10
	s_add_u32 s6, s1, s6
	s_addc_u32 s2, s2, s7
	v_add_co_u32 v14, vcc_lo, s6, v1
	v_cmp_gt_i32_e64 s1, s37, v0
	v_add_co_ci_u32_e32 v15, vcc_lo, s2, v2, vcc_lo
	v_add_nc_u32_e32 v16, 0x800, v11
	v_add_nc_u32_e32 v17, 0x1000, v11
	;; [unrolled: 1-line block ×3, first 2 shown]
	s_cmp_gt_i32 s37, 0
	s_cselect_b32 s6, -1, 0
	s_branch .LBB10_4
.LBB10_3:                               ;   in Loop: Header=BB10_4 Depth=1
	s_add_i32 s14, s14, s12
	s_delay_alu instid0(SALU_CYCLE_1)
	s_cmp_gt_i32 s14, s3
	s_cbranch_scc1 .LBB10_13
.LBB10_4:                               ; =>This Loop Header: Depth=1
                                        ;     Child Loop BB10_7 Depth 2
	s_and_not1_b32 vcc_lo, exec_lo, s6
	s_cbranch_vccnz .LBB10_3
; %bb.5:                                ;   in Loop: Header=BB10_4 Depth=1
	v_lshl_add_u32 v5, s14, 5, v9
	s_mov_b32 s8, 0
	s_delay_alu instid0(VALU_DEP_1) | instskip(SKIP_3) | instid1(VALU_DEP_4)
	v_ashrrev_i32_e32 v6, 31, v5
	v_mul_lo_u32 v7, v5, s31
	v_mad_u64_u32 v[1:2], null, v5, s30, 0
	v_mul_lo_u32 v20, v5, s11
	v_mul_lo_u32 v19, v6, s30
	v_mad_u64_u32 v[3:4], null, v5, s10, 0
	v_mul_lo_u32 v6, v6, s10
	v_cmp_gt_i32_e32 vcc_lo, s38, v5
	s_delay_alu instid0(VALU_DEP_4) | instskip(SKIP_1) | instid1(VALU_DEP_3)
	v_add3_u32 v2, v2, v7, v19
	s_and_b32 s7, s1, vcc_lo
	v_add3_u32 v4, v4, v20, v6
	s_delay_alu instid0(VALU_DEP_2) | instskip(NEXT) | instid1(VALU_DEP_2)
	v_lshlrev_b64 v[1:2], 3, v[1:2]
	v_lshlrev_b64 v[3:4], 3, v[3:4]
	s_delay_alu instid0(VALU_DEP_2) | instskip(NEXT) | instid1(VALU_DEP_1)
	v_add_co_u32 v19, s2, s4, v1
	v_add_co_ci_u32_e64 v20, s2, s5, v2, s2
	s_delay_alu instid0(VALU_DEP_3) | instskip(NEXT) | instid1(VALU_DEP_1)
	v_add_co_u32 v1, s2, v14, v3
	v_add_co_ci_u32_e64 v2, s2, v15, v4, s2
	s_branch .LBB10_7
.LBB10_6:                               ;   in Loop: Header=BB10_7 Depth=2
	s_or_b32 exec_lo, exec_lo, s2
	s_add_i32 s8, s8, 32
	s_waitcnt_vscnt null, 0x0
	s_cmp_ge_i32 s8, s37
	s_barrier
	buffer_gl0_inv
	s_cbranch_scc1 .LBB10_3
.LBB10_7:                               ;   Parent Loop BB10_4 Depth=1
                                        ; =>  This Inner Loop Header: Depth=2
	v_add_nc_u32_e32 v3, s8, v9
	s_delay_alu instid0(VALU_DEP_1) | instskip(SKIP_1) | instid1(VALU_DEP_1)
	v_cndmask_b32_e64 v4, v3, v0, s0
	v_cndmask_b32_e64 v5, v0, v3, s0
	v_cmp_gt_i32_e64 s2, v4, v5
	s_delay_alu instid0(VALU_DEP_1) | instskip(SKIP_3) | instid1(VALU_DEP_3)
	v_cndmask_b32_e64 v5, v0, v3, s2
	v_cndmask_b32_e64 v21, v3, v0, s2
	v_mov_b32_e32 v3, 0
	v_mov_b32_e32 v4, 0
	v_max_i32_e32 v6, v5, v21
	s_delay_alu instid0(VALU_DEP_1) | instskip(NEXT) | instid1(VALU_DEP_3)
	v_cmp_gt_i32_e64 s2, s37, v6
	v_dual_mov_b32 v7, v4 :: v_dual_mov_b32 v6, v3
	s_delay_alu instid0(VALU_DEP_2)
	s_and_saveexec_b32 s9, s2
	s_cbranch_execz .LBB10_9
; %bb.8:                                ;   in Loop: Header=BB10_7 Depth=2
	v_ashrrev_i32_e32 v6, 31, v21
	v_mul_lo_u32 v7, v21, s23
	v_mad_u64_u32 v[22:23], null, v21, s22, 0
	s_delay_alu instid0(VALU_DEP_3) | instskip(NEXT) | instid1(VALU_DEP_1)
	v_mul_lo_u32 v6, v6, s22
	v_add3_u32 v23, v23, v7, v6
	v_ashrrev_i32_e32 v6, 31, v5
	s_delay_alu instid0(VALU_DEP_2) | instskip(NEXT) | instid1(VALU_DEP_2)
	v_lshlrev_b64 v[21:22], 3, v[22:23]
	v_lshlrev_b64 v[5:6], 3, v[5:6]
	s_delay_alu instid0(VALU_DEP_2) | instskip(NEXT) | instid1(VALU_DEP_1)
	v_add_co_u32 v7, s2, s13, v21
	v_add_co_ci_u32_e64 v21, s2, s18, v22, s2
	s_delay_alu instid0(VALU_DEP_2) | instskip(NEXT) | instid1(VALU_DEP_1)
	v_add_co_u32 v5, s2, v7, v5
	v_add_co_ci_u32_e64 v6, s2, v21, v6, s2
	global_load_b64 v[6:7], v[5:6], off
.LBB10_9:                               ;   in Loop: Header=BB10_7 Depth=2
	s_or_b32 exec_lo, exec_lo, s9
	v_add_nc_u32_e32 v5, s8, v8
	s_waitcnt vmcnt(0)
	ds_store_b64 v12, v[6:7]
	v_cmp_gt_i32_e64 s2, s37, v5
	s_delay_alu instid0(VALU_DEP_1) | instskip(NEXT) | instid1(SALU_CYCLE_1)
	s_and_b32 s2, s2, vcc_lo
	s_and_saveexec_b32 s9, s2
	s_cbranch_execz .LBB10_11
; %bb.10:                               ;   in Loop: Header=BB10_7 Depth=2
	v_ashrrev_i32_e32 v6, 31, v5
	s_delay_alu instid0(VALU_DEP_1) | instskip(NEXT) | instid1(VALU_DEP_1)
	v_lshlrev_b64 v[3:4], 3, v[5:6]
	v_add_co_u32 v3, s2, v19, v3
	s_delay_alu instid0(VALU_DEP_1)
	v_add_co_ci_u32_e64 v4, s2, v20, v4, s2
	global_load_b64 v[3:4], v[3:4], off
.LBB10_11:                              ;   in Loop: Header=BB10_7 Depth=2
	s_or_b32 exec_lo, exec_lo, s9
	s_waitcnt vmcnt(0)
	ds_store_b64 v13, v[3:4]
	s_waitcnt lgkmcnt(0)
	s_barrier
	buffer_gl0_inv
	s_and_saveexec_b32 s2, s7
	s_cbranch_execz .LBB10_6
; %bb.12:                               ;   in Loop: Header=BB10_7 Depth=2
	ds_load_2addr_b64 v[3:6], v11 offset1:32
	ds_load_b128 v[21:24], v10
	ds_load_b128 v[25:28], v10 offset:16
	s_waitcnt lgkmcnt(1)
	v_fma_f64 v[3:4], v[21:22], v[3:4], 0
	s_delay_alu instid0(VALU_DEP_1) | instskip(SKIP_3) | instid1(VALU_DEP_1)
	v_fma_f64 v[21:22], v[23:24], v[5:6], v[3:4]
	ds_load_2addr_b64 v[3:6], v11 offset0:64 offset1:96
	s_waitcnt lgkmcnt(0)
	v_fma_f64 v[3:4], v[25:26], v[3:4], v[21:22]
	v_fma_f64 v[29:30], v[27:28], v[5:6], v[3:4]
	ds_load_2addr_b64 v[3:6], v11 offset0:128 offset1:160
	ds_load_b128 v[21:24], v10 offset:32
	ds_load_b128 v[25:28], v10 offset:48
	s_waitcnt lgkmcnt(1)
	v_fma_f64 v[3:4], v[21:22], v[3:4], v[29:30]
	s_delay_alu instid0(VALU_DEP_1) | instskip(SKIP_3) | instid1(VALU_DEP_1)
	v_fma_f64 v[21:22], v[23:24], v[5:6], v[3:4]
	ds_load_2addr_b64 v[3:6], v11 offset0:192 offset1:224
	s_waitcnt lgkmcnt(0)
	v_fma_f64 v[3:4], v[25:26], v[3:4], v[21:22]
	v_fma_f64 v[29:30], v[27:28], v[5:6], v[3:4]
	ds_load_2addr_b64 v[3:6], v16 offset1:32
	ds_load_b128 v[21:24], v10 offset:64
	ds_load_b128 v[25:28], v10 offset:80
	s_waitcnt lgkmcnt(1)
	v_fma_f64 v[3:4], v[21:22], v[3:4], v[29:30]
	s_delay_alu instid0(VALU_DEP_1) | instskip(SKIP_3) | instid1(VALU_DEP_1)
	v_fma_f64 v[21:22], v[23:24], v[5:6], v[3:4]
	ds_load_2addr_b64 v[3:6], v16 offset0:64 offset1:96
	s_waitcnt lgkmcnt(0)
	v_fma_f64 v[3:4], v[25:26], v[3:4], v[21:22]
	v_fma_f64 v[29:30], v[27:28], v[5:6], v[3:4]
	ds_load_2addr_b64 v[3:6], v16 offset0:128 offset1:160
	ds_load_b128 v[21:24], v10 offset:96
	ds_load_b128 v[25:28], v10 offset:112
	s_waitcnt lgkmcnt(1)
	v_fma_f64 v[3:4], v[21:22], v[3:4], v[29:30]
	s_delay_alu instid0(VALU_DEP_1) | instskip(SKIP_3) | instid1(VALU_DEP_1)
	v_fma_f64 v[21:22], v[23:24], v[5:6], v[3:4]
	ds_load_2addr_b64 v[3:6], v16 offset0:192 offset1:224
	s_waitcnt lgkmcnt(0)
	v_fma_f64 v[3:4], v[25:26], v[3:4], v[21:22]
	v_fma_f64 v[29:30], v[27:28], v[5:6], v[3:4]
	ds_load_2addr_b64 v[3:6], v17 offset1:32
	ds_load_b128 v[21:24], v10 offset:128
	;; [unrolled: 22-line block ×3, first 2 shown]
	global_load_b64 v[31:32], v[1:2], off
	ds_load_b128 v[25:28], v10 offset:208
	s_waitcnt lgkmcnt(1)
	v_fma_f64 v[3:4], v[21:22], v[3:4], v[29:30]
	s_delay_alu instid0(VALU_DEP_1) | instskip(SKIP_3) | instid1(VALU_DEP_1)
	v_fma_f64 v[21:22], v[23:24], v[5:6], v[3:4]
	ds_load_2addr_b64 v[3:6], v18 offset0:64 offset1:96
	s_waitcnt lgkmcnt(0)
	v_fma_f64 v[3:4], v[25:26], v[3:4], v[21:22]
	v_fma_f64 v[29:30], v[27:28], v[5:6], v[3:4]
	ds_load_2addr_b64 v[3:6], v18 offset0:128 offset1:160
	ds_load_b128 v[21:24], v10 offset:224
	ds_load_b128 v[25:28], v10 offset:240
	s_waitcnt lgkmcnt(1)
	v_fma_f64 v[3:4], v[21:22], v[3:4], v[29:30]
	s_delay_alu instid0(VALU_DEP_1) | instskip(SKIP_3) | instid1(VALU_DEP_1)
	v_fma_f64 v[21:22], v[23:24], v[5:6], v[3:4]
	ds_load_2addr_b64 v[3:6], v18 offset0:192 offset1:224
	s_waitcnt lgkmcnt(0)
	v_fma_f64 v[3:4], v[25:26], v[3:4], v[21:22]
	v_fma_f64 v[3:4], v[27:28], v[5:6], v[3:4]
	s_waitcnt vmcnt(0)
	s_delay_alu instid0(VALU_DEP_1)
	v_fma_f64 v[3:4], v[3:4], s[16:17], v[31:32]
	global_store_b64 v[1:2], v[3:4], off
	s_branch .LBB10_6
.LBB10_13:
	s_endpgm
	.section	.rodata,"a",@progbits
	.p2align	6, 0x0
	.amdhsa_kernel _ZL24rocblas_symm_hemm_kernelILb0ELb0ELi32EdPKdPdEvbiiT2_T3_lllS4_lllT4_llli
		.amdhsa_group_segment_fixed_size 16384
		.amdhsa_private_segment_fixed_size 0
		.amdhsa_kernarg_size 384
		.amdhsa_user_sgpr_count 13
		.amdhsa_user_sgpr_dispatch_ptr 0
		.amdhsa_user_sgpr_queue_ptr 0
		.amdhsa_user_sgpr_kernarg_segment_ptr 1
		.amdhsa_user_sgpr_dispatch_id 0
		.amdhsa_user_sgpr_private_segment_size 0
		.amdhsa_wavefront_size32 1
		.amdhsa_uses_dynamic_stack 0
		.amdhsa_enable_private_segment 0
		.amdhsa_system_sgpr_workgroup_id_x 1
		.amdhsa_system_sgpr_workgroup_id_y 1
		.amdhsa_system_sgpr_workgroup_id_z 1
		.amdhsa_system_sgpr_workgroup_info 0
		.amdhsa_system_vgpr_workitem_id 1
		.amdhsa_next_free_vgpr 33
		.amdhsa_next_free_sgpr 40
		.amdhsa_reserve_vcc 1
		.amdhsa_float_round_mode_32 0
		.amdhsa_float_round_mode_16_64 0
		.amdhsa_float_denorm_mode_32 3
		.amdhsa_float_denorm_mode_16_64 3
		.amdhsa_dx10_clamp 1
		.amdhsa_ieee_mode 1
		.amdhsa_fp16_overflow 0
		.amdhsa_workgroup_processor_mode 1
		.amdhsa_memory_ordered 1
		.amdhsa_forward_progress 0
		.amdhsa_shared_vgpr_count 0
		.amdhsa_exception_fp_ieee_invalid_op 0
		.amdhsa_exception_fp_denorm_src 0
		.amdhsa_exception_fp_ieee_div_zero 0
		.amdhsa_exception_fp_ieee_overflow 0
		.amdhsa_exception_fp_ieee_underflow 0
		.amdhsa_exception_fp_ieee_inexact 0
		.amdhsa_exception_int_div_zero 0
	.end_amdhsa_kernel
	.section	.text._ZL24rocblas_symm_hemm_kernelILb0ELb0ELi32EdPKdPdEvbiiT2_T3_lllS4_lllT4_llli,"axG",@progbits,_ZL24rocblas_symm_hemm_kernelILb0ELb0ELi32EdPKdPdEvbiiT2_T3_lllS4_lllT4_llli,comdat
.Lfunc_end10:
	.size	_ZL24rocblas_symm_hemm_kernelILb0ELb0ELi32EdPKdPdEvbiiT2_T3_lllS4_lllT4_llli, .Lfunc_end10-_ZL24rocblas_symm_hemm_kernelILb0ELb0ELi32EdPKdPdEvbiiT2_T3_lllS4_lllT4_llli
                                        ; -- End function
	.section	.AMDGPU.csdata,"",@progbits
; Kernel info:
; codeLenInByte = 1556
; NumSgprs: 42
; NumVgprs: 33
; ScratchSize: 0
; MemoryBound: 0
; FloatMode: 240
; IeeeMode: 1
; LDSByteSize: 16384 bytes/workgroup (compile time only)
; SGPRBlocks: 5
; VGPRBlocks: 4
; NumSGPRsForWavesPerEU: 42
; NumVGPRsForWavesPerEU: 33
; Occupancy: 16
; WaveLimiterHint : 0
; COMPUTE_PGM_RSRC2:SCRATCH_EN: 0
; COMPUTE_PGM_RSRC2:USER_SGPR: 13
; COMPUTE_PGM_RSRC2:TRAP_HANDLER: 0
; COMPUTE_PGM_RSRC2:TGID_X_EN: 1
; COMPUTE_PGM_RSRC2:TGID_Y_EN: 1
; COMPUTE_PGM_RSRC2:TGID_Z_EN: 1
; COMPUTE_PGM_RSRC2:TIDIG_COMP_CNT: 1
	.section	.text._ZL24rocblas_symm_hemm_kernelILb0ELb1ELi32EdPKdPdEvbiiT2_T3_lllS4_lllT4_llli,"axG",@progbits,_ZL24rocblas_symm_hemm_kernelILb0ELb1ELi32EdPKdPdEvbiiT2_T3_lllS4_lllT4_llli,comdat
	.globl	_ZL24rocblas_symm_hemm_kernelILb0ELb1ELi32EdPKdPdEvbiiT2_T3_lllS4_lllT4_llli ; -- Begin function _ZL24rocblas_symm_hemm_kernelILb0ELb1ELi32EdPKdPdEvbiiT2_T3_lllS4_lllT4_llli
	.p2align	8
	.type	_ZL24rocblas_symm_hemm_kernelILb0ELb1ELi32EdPKdPdEvbiiT2_T3_lllS4_lllT4_llli,@function
_ZL24rocblas_symm_hemm_kernelILb0ELb1ELi32EdPKdPdEvbiiT2_T3_lllS4_lllT4_llli: ; @_ZL24rocblas_symm_hemm_kernelILb0ELb1ELi32EdPKdPdEvbiiT2_T3_lllS4_lllT4_llli
; %bb.0:
	s_load_b512 s[16:31], s[0:1], 0x10
	s_waitcnt lgkmcnt(0)
	v_cmp_eq_f64_e64 s2, s[16:17], 0
	s_delay_alu instid0(VALU_DEP_1)
	s_and_b32 vcc_lo, exec_lo, s2
	s_cbranch_vccnz .LBB11_13
; %bb.1:
	s_load_b128 s[36:39], s[0:1], 0x0
	s_waitcnt lgkmcnt(0)
	s_add_i32 s2, s38, -1
	s_delay_alu instid0(SALU_CYCLE_1) | instskip(NEXT) | instid1(SALU_CYCLE_1)
	s_ashr_i32 s3, s2, 31
	s_lshr_b32 s3, s3, 27
	s_delay_alu instid0(SALU_CYCLE_1) | instskip(NEXT) | instid1(SALU_CYCLE_1)
	s_add_i32 s2, s2, s3
	s_ashr_i32 s3, s2, 5
	s_delay_alu instid0(SALU_CYCLE_1)
	s_cmp_gt_i32 s14, s3
	s_cbranch_scc1 .LBB11_13
; %bb.2:
	s_clause 0x1
	s_load_b64 s[34:35], s[0:1], 0x70
	s_load_b256 s[4:11], s[0:1], 0x50
	s_mul_i32 s2, s15, s25
	s_mul_hi_u32 s12, s15, s24
	s_mul_i32 s24, s15, s24
	s_add_i32 s25, s12, s2
	s_load_b32 s12, s[0:1], 0x84
	s_lshl_b64 s[24:25], s[24:25], 3
	v_and_b32_e32 v7, 0x3ff, v0
	s_add_u32 s2, s18, s24
	s_addc_u32 s24, s19, s25
	s_lshl_b64 s[18:19], s[20:21], 3
	v_bfe_u32 v8, v0, 10, 10
	s_add_u32 s18, s2, s18
	s_addc_u32 s19, s24, s19
	s_bitcmp1_b32 s36, 0
	v_lshl_add_u32 v1, s13, 5, v7
	s_cselect_b32 s0, -1, 0
	v_lshlrev_b32_e32 v0, 3, v8
	v_lshlrev_b32_e32 v9, 8, v7
	s_waitcnt lgkmcnt(0)
	s_mul_i32 s1, s15, s35
	s_mul_hi_u32 s2, s15, s34
	s_mul_i32 s20, s15, s34
	s_add_i32 s21, s2, s1
	s_mul_i32 s1, s15, s5
	s_lshl_b64 s[20:21], s[20:21], 3
	s_mul_hi_u32 s2, s15, s4
	s_add_u32 s5, s6, s20
	s_addc_u32 s13, s7, s21
	s_lshl_b64 s[6:7], s[8:9], 3
	v_ashrrev_i32_e32 v2, 31, v1
	s_add_u32 s6, s5, s6
	s_mul_i32 s4, s15, s4
	s_addc_u32 s7, s13, s7
	s_add_i32 s5, s2, s1
	v_lshlrev_b64 v[2:3], 3, v[1:2]
	s_lshl_b64 s[4:5], s[4:5], 3
	v_or_b32_e32 v10, 0x2000, v0
	s_add_u32 s1, s26, s4
	s_addc_u32 s2, s27, s5
	s_lshl_b64 s[4:5], s[28:29], 3
	v_add_nc_u32_e32 v13, v9, v0
	s_add_u32 s4, s1, s4
	s_addc_u32 s2, s2, s5
	v_add_co_u32 v11, vcc_lo, s4, v2
	v_add_co_ci_u32_e32 v12, vcc_lo, s2, v3, vcc_lo
	v_add_co_u32 v15, vcc_lo, s6, v2
	v_cmp_gt_i32_e64 s1, s37, v1
	v_add_nc_u32_e32 v14, v10, v9
	v_add_co_ci_u32_e32 v16, vcc_lo, s7, v3, vcc_lo
	v_add_nc_u32_e32 v17, 0x800, v10
	v_add_nc_u32_e32 v18, 0x1000, v10
	;; [unrolled: 1-line block ×3, first 2 shown]
	s_cmp_gt_i32 s38, 0
	s_cselect_b32 s4, -1, 0
	s_branch .LBB11_4
.LBB11_3:                               ;   in Loop: Header=BB11_4 Depth=1
	s_add_i32 s14, s14, s12
	s_delay_alu instid0(SALU_CYCLE_1)
	s_cmp_gt_i32 s14, s3
	s_cbranch_scc1 .LBB11_13
.LBB11_4:                               ; =>This Loop Header: Depth=1
                                        ;     Child Loop BB11_7 Depth 2
	s_and_not1_b32 vcc_lo, exec_lo, s4
	s_cbranch_vccnz .LBB11_3
; %bb.5:                                ;   in Loop: Header=BB11_4 Depth=1
	v_lshl_add_u32 v20, s14, 5, v8
	s_mov_b32 s5, 0
	s_delay_alu instid0(VALU_DEP_1) | instskip(SKIP_3) | instid1(VALU_DEP_4)
	v_ashrrev_i32_e32 v2, 31, v20
	v_mul_lo_u32 v3, v20, s11
	v_mad_u64_u32 v[0:1], null, v20, s10, 0
	v_cmp_gt_i32_e32 vcc_lo, s38, v20
	v_mul_lo_u32 v2, v2, s10
	s_delay_alu instid0(VALU_DEP_1) | instskip(NEXT) | instid1(VALU_DEP_1)
	v_add3_u32 v1, v1, v3, v2
	v_lshlrev_b64 v[0:1], 3, v[0:1]
	s_delay_alu instid0(VALU_DEP_1) | instskip(NEXT) | instid1(VALU_DEP_1)
	v_add_co_u32 v0, s2, v15, v0
	v_add_co_ci_u32_e64 v1, s2, v16, v1, s2
	s_and_b32 s2, s1, vcc_lo
	s_branch .LBB11_7
.LBB11_6:                               ;   in Loop: Header=BB11_7 Depth=2
	s_or_b32 exec_lo, exec_lo, s6
	s_add_i32 s5, s5, 32
	s_waitcnt_vscnt null, 0x0
	s_cmp_ge_i32 s5, s38
	s_barrier
	buffer_gl0_inv
	s_cbranch_scc1 .LBB11_3
.LBB11_7:                               ;   Parent Loop BB11_4 Depth=1
                                        ; =>  This Inner Loop Header: Depth=2
	v_add_nc_u32_e32 v4, s5, v8
	v_mov_b32_e32 v2, 0
	v_mov_b32_e32 v3, 0
	s_delay_alu instid0(VALU_DEP_3) | instskip(NEXT) | instid1(VALU_DEP_2)
	v_cmp_gt_i32_e32 vcc_lo, s38, v4
	v_dual_mov_b32 v6, v3 :: v_dual_mov_b32 v5, v2
	s_and_b32 s7, s1, vcc_lo
	s_delay_alu instid0(SALU_CYCLE_1)
	s_and_saveexec_b32 s6, s7
	s_cbranch_execz .LBB11_9
; %bb.8:                                ;   in Loop: Header=BB11_7 Depth=2
	v_ashrrev_i32_e32 v21, 31, v4
	v_mul_lo_u32 v22, v4, s31
	v_mad_u64_u32 v[5:6], null, v4, s30, 0
	s_delay_alu instid0(VALU_DEP_3) | instskip(NEXT) | instid1(VALU_DEP_1)
	v_mul_lo_u32 v4, v21, s30
	v_add3_u32 v6, v6, v22, v4
	s_delay_alu instid0(VALU_DEP_1) | instskip(NEXT) | instid1(VALU_DEP_1)
	v_lshlrev_b64 v[4:5], 3, v[5:6]
	v_add_co_u32 v4, vcc_lo, v11, v4
	s_delay_alu instid0(VALU_DEP_2)
	v_add_co_ci_u32_e32 v5, vcc_lo, v12, v5, vcc_lo
	global_load_b64 v[5:6], v[4:5], off
.LBB11_9:                               ;   in Loop: Header=BB11_7 Depth=2
	s_or_b32 exec_lo, exec_lo, s6
	v_add_nc_u32_e32 v21, s5, v7
	s_mov_b32 s6, exec_lo
	s_waitcnt vmcnt(0)
	ds_store_b64 v13, v[5:6]
	v_cndmask_b32_e64 v4, v20, v21, s0
	v_cndmask_b32_e64 v22, v21, v20, s0
	s_delay_alu instid0(VALU_DEP_1) | instskip(SKIP_1) | instid1(VALU_DEP_1)
	v_cmp_gt_i32_e32 vcc_lo, v4, v22
	v_dual_cndmask_b32 v4, v21, v20 :: v_dual_cndmask_b32 v21, v20, v21
	v_max_i32_e32 v22, v4, v21
	s_delay_alu instid0(VALU_DEP_1)
	v_cmpx_gt_i32_e64 s38, v22
	s_cbranch_execz .LBB11_11
; %bb.10:                               ;   in Loop: Header=BB11_7 Depth=2
	v_ashrrev_i32_e32 v5, 31, v21
	v_mul_lo_u32 v6, v21, s23
	v_mad_u64_u32 v[2:3], null, v21, s22, 0
	s_delay_alu instid0(VALU_DEP_3) | instskip(NEXT) | instid1(VALU_DEP_1)
	v_mul_lo_u32 v5, v5, s22
	v_add3_u32 v3, v3, v6, v5
	v_ashrrev_i32_e32 v5, 31, v4
	s_delay_alu instid0(VALU_DEP_2) | instskip(NEXT) | instid1(VALU_DEP_2)
	v_lshlrev_b64 v[2:3], 3, v[2:3]
	v_lshlrev_b64 v[4:5], 3, v[4:5]
	s_delay_alu instid0(VALU_DEP_2) | instskip(NEXT) | instid1(VALU_DEP_3)
	v_add_co_u32 v2, vcc_lo, s18, v2
	v_add_co_ci_u32_e32 v3, vcc_lo, s19, v3, vcc_lo
	s_delay_alu instid0(VALU_DEP_2) | instskip(NEXT) | instid1(VALU_DEP_2)
	v_add_co_u32 v2, vcc_lo, v2, v4
	v_add_co_ci_u32_e32 v3, vcc_lo, v3, v5, vcc_lo
	global_load_b64 v[2:3], v[2:3], off
.LBB11_11:                              ;   in Loop: Header=BB11_7 Depth=2
	s_or_b32 exec_lo, exec_lo, s6
	s_waitcnt vmcnt(0)
	ds_store_b64 v14, v[2:3]
	s_waitcnt lgkmcnt(0)
	s_barrier
	buffer_gl0_inv
	s_and_saveexec_b32 s6, s2
	s_cbranch_execz .LBB11_6
; %bb.12:                               ;   in Loop: Header=BB11_7 Depth=2
	ds_load_2addr_b64 v[2:5], v10 offset1:32
	ds_load_b128 v[21:24], v9
	ds_load_b128 v[25:28], v9 offset:16
	s_waitcnt lgkmcnt(1)
	v_fma_f64 v[2:3], v[21:22], v[2:3], 0
	s_delay_alu instid0(VALU_DEP_1) | instskip(SKIP_3) | instid1(VALU_DEP_1)
	v_fma_f64 v[21:22], v[23:24], v[4:5], v[2:3]
	ds_load_2addr_b64 v[2:5], v10 offset0:64 offset1:96
	s_waitcnt lgkmcnt(0)
	v_fma_f64 v[2:3], v[25:26], v[2:3], v[21:22]
	v_fma_f64 v[29:30], v[27:28], v[4:5], v[2:3]
	ds_load_2addr_b64 v[2:5], v10 offset0:128 offset1:160
	ds_load_b128 v[21:24], v9 offset:32
	ds_load_b128 v[25:28], v9 offset:48
	s_waitcnt lgkmcnt(1)
	v_fma_f64 v[2:3], v[21:22], v[2:3], v[29:30]
	s_delay_alu instid0(VALU_DEP_1) | instskip(SKIP_3) | instid1(VALU_DEP_1)
	v_fma_f64 v[21:22], v[23:24], v[4:5], v[2:3]
	ds_load_2addr_b64 v[2:5], v10 offset0:192 offset1:224
	s_waitcnt lgkmcnt(0)
	v_fma_f64 v[2:3], v[25:26], v[2:3], v[21:22]
	v_fma_f64 v[29:30], v[27:28], v[4:5], v[2:3]
	ds_load_2addr_b64 v[2:5], v17 offset1:32
	ds_load_b128 v[21:24], v9 offset:64
	ds_load_b128 v[25:28], v9 offset:80
	s_waitcnt lgkmcnt(1)
	v_fma_f64 v[2:3], v[21:22], v[2:3], v[29:30]
	s_delay_alu instid0(VALU_DEP_1) | instskip(SKIP_3) | instid1(VALU_DEP_1)
	v_fma_f64 v[21:22], v[23:24], v[4:5], v[2:3]
	ds_load_2addr_b64 v[2:5], v17 offset0:64 offset1:96
	s_waitcnt lgkmcnt(0)
	v_fma_f64 v[2:3], v[25:26], v[2:3], v[21:22]
	v_fma_f64 v[29:30], v[27:28], v[4:5], v[2:3]
	ds_load_2addr_b64 v[2:5], v17 offset0:128 offset1:160
	ds_load_b128 v[21:24], v9 offset:96
	ds_load_b128 v[25:28], v9 offset:112
	s_waitcnt lgkmcnt(1)
	v_fma_f64 v[2:3], v[21:22], v[2:3], v[29:30]
	s_delay_alu instid0(VALU_DEP_1) | instskip(SKIP_3) | instid1(VALU_DEP_1)
	v_fma_f64 v[21:22], v[23:24], v[4:5], v[2:3]
	ds_load_2addr_b64 v[2:5], v17 offset0:192 offset1:224
	s_waitcnt lgkmcnt(0)
	v_fma_f64 v[2:3], v[25:26], v[2:3], v[21:22]
	v_fma_f64 v[29:30], v[27:28], v[4:5], v[2:3]
	ds_load_2addr_b64 v[2:5], v18 offset1:32
	ds_load_b128 v[21:24], v9 offset:128
	;; [unrolled: 22-line block ×3, first 2 shown]
	global_load_b64 v[31:32], v[0:1], off
	ds_load_b128 v[25:28], v9 offset:208
	s_waitcnt lgkmcnt(1)
	v_fma_f64 v[2:3], v[21:22], v[2:3], v[29:30]
	s_delay_alu instid0(VALU_DEP_1) | instskip(SKIP_3) | instid1(VALU_DEP_1)
	v_fma_f64 v[21:22], v[23:24], v[4:5], v[2:3]
	ds_load_2addr_b64 v[2:5], v19 offset0:64 offset1:96
	s_waitcnt lgkmcnt(0)
	v_fma_f64 v[2:3], v[25:26], v[2:3], v[21:22]
	v_fma_f64 v[29:30], v[27:28], v[4:5], v[2:3]
	ds_load_2addr_b64 v[2:5], v19 offset0:128 offset1:160
	ds_load_b128 v[21:24], v9 offset:224
	ds_load_b128 v[25:28], v9 offset:240
	s_waitcnt lgkmcnt(1)
	v_fma_f64 v[2:3], v[21:22], v[2:3], v[29:30]
	s_delay_alu instid0(VALU_DEP_1) | instskip(SKIP_3) | instid1(VALU_DEP_1)
	v_fma_f64 v[21:22], v[23:24], v[4:5], v[2:3]
	ds_load_2addr_b64 v[2:5], v19 offset0:192 offset1:224
	s_waitcnt lgkmcnt(0)
	v_fma_f64 v[2:3], v[25:26], v[2:3], v[21:22]
	v_fma_f64 v[2:3], v[27:28], v[4:5], v[2:3]
	s_waitcnt vmcnt(0)
	s_delay_alu instid0(VALU_DEP_1)
	v_fma_f64 v[2:3], v[2:3], s[16:17], v[31:32]
	global_store_b64 v[0:1], v[2:3], off
	s_branch .LBB11_6
.LBB11_13:
	s_endpgm
	.section	.rodata,"a",@progbits
	.p2align	6, 0x0
	.amdhsa_kernel _ZL24rocblas_symm_hemm_kernelILb0ELb1ELi32EdPKdPdEvbiiT2_T3_lllS4_lllT4_llli
		.amdhsa_group_segment_fixed_size 16384
		.amdhsa_private_segment_fixed_size 0
		.amdhsa_kernarg_size 384
		.amdhsa_user_sgpr_count 13
		.amdhsa_user_sgpr_dispatch_ptr 0
		.amdhsa_user_sgpr_queue_ptr 0
		.amdhsa_user_sgpr_kernarg_segment_ptr 1
		.amdhsa_user_sgpr_dispatch_id 0
		.amdhsa_user_sgpr_private_segment_size 0
		.amdhsa_wavefront_size32 1
		.amdhsa_uses_dynamic_stack 0
		.amdhsa_enable_private_segment 0
		.amdhsa_system_sgpr_workgroup_id_x 1
		.amdhsa_system_sgpr_workgroup_id_y 1
		.amdhsa_system_sgpr_workgroup_id_z 1
		.amdhsa_system_sgpr_workgroup_info 0
		.amdhsa_system_vgpr_workitem_id 1
		.amdhsa_next_free_vgpr 33
		.amdhsa_next_free_sgpr 40
		.amdhsa_reserve_vcc 1
		.amdhsa_float_round_mode_32 0
		.amdhsa_float_round_mode_16_64 0
		.amdhsa_float_denorm_mode_32 3
		.amdhsa_float_denorm_mode_16_64 3
		.amdhsa_dx10_clamp 1
		.amdhsa_ieee_mode 1
		.amdhsa_fp16_overflow 0
		.amdhsa_workgroup_processor_mode 1
		.amdhsa_memory_ordered 1
		.amdhsa_forward_progress 0
		.amdhsa_shared_vgpr_count 0
		.amdhsa_exception_fp_ieee_invalid_op 0
		.amdhsa_exception_fp_denorm_src 0
		.amdhsa_exception_fp_ieee_div_zero 0
		.amdhsa_exception_fp_ieee_overflow 0
		.amdhsa_exception_fp_ieee_underflow 0
		.amdhsa_exception_fp_ieee_inexact 0
		.amdhsa_exception_int_div_zero 0
	.end_amdhsa_kernel
	.section	.text._ZL24rocblas_symm_hemm_kernelILb0ELb1ELi32EdPKdPdEvbiiT2_T3_lllS4_lllT4_llli,"axG",@progbits,_ZL24rocblas_symm_hemm_kernelILb0ELb1ELi32EdPKdPdEvbiiT2_T3_lllS4_lllT4_llli,comdat
.Lfunc_end11:
	.size	_ZL24rocblas_symm_hemm_kernelILb0ELb1ELi32EdPKdPdEvbiiT2_T3_lllS4_lllT4_llli, .Lfunc_end11-_ZL24rocblas_symm_hemm_kernelILb0ELb1ELi32EdPKdPdEvbiiT2_T3_lllS4_lllT4_llli
                                        ; -- End function
	.section	.AMDGPU.csdata,"",@progbits
; Kernel info:
; codeLenInByte = 1512
; NumSgprs: 42
; NumVgprs: 33
; ScratchSize: 0
; MemoryBound: 0
; FloatMode: 240
; IeeeMode: 1
; LDSByteSize: 16384 bytes/workgroup (compile time only)
; SGPRBlocks: 5
; VGPRBlocks: 4
; NumSGPRsForWavesPerEU: 42
; NumVGPRsForWavesPerEU: 33
; Occupancy: 16
; WaveLimiterHint : 0
; COMPUTE_PGM_RSRC2:SCRATCH_EN: 0
; COMPUTE_PGM_RSRC2:USER_SGPR: 13
; COMPUTE_PGM_RSRC2:TRAP_HANDLER: 0
; COMPUTE_PGM_RSRC2:TGID_X_EN: 1
; COMPUTE_PGM_RSRC2:TGID_Y_EN: 1
; COMPUTE_PGM_RSRC2:TGID_Z_EN: 1
; COMPUTE_PGM_RSRC2:TIDIG_COMP_CNT: 1
	.section	.text._ZL25rocblas_symm_scale_kernelILi128ELi8EPK19rocblas_complex_numIfEPS1_EviiT1_T2_llli,"axG",@progbits,_ZL25rocblas_symm_scale_kernelILi128ELi8EPK19rocblas_complex_numIfEPS1_EviiT1_T2_llli,comdat
	.globl	_ZL25rocblas_symm_scale_kernelILi128ELi8EPK19rocblas_complex_numIfEPS1_EviiT1_T2_llli ; -- Begin function _ZL25rocblas_symm_scale_kernelILi128ELi8EPK19rocblas_complex_numIfEPS1_EviiT1_T2_llli
	.p2align	8
	.type	_ZL25rocblas_symm_scale_kernelILi128ELi8EPK19rocblas_complex_numIfEPS1_EviiT1_T2_llli,@function
_ZL25rocblas_symm_scale_kernelILi128ELi8EPK19rocblas_complex_numIfEPS1_EviiT1_T2_llli: ; @_ZL25rocblas_symm_scale_kernelILi128ELi8EPK19rocblas_complex_numIfEPS1_EviiT1_T2_llli
; %bb.0:
	s_load_b256 s[4:11], s[0:1], 0x8
	s_waitcnt lgkmcnt(0)
	s_load_b64 s[4:5], s[4:5], 0x0
	s_waitcnt lgkmcnt(0)
	v_cmp_eq_f32_e64 s2, s4, 1.0
	v_cmp_eq_f32_e64 s3, s5, 0
	s_delay_alu instid0(VALU_DEP_1) | instskip(NEXT) | instid1(SALU_CYCLE_1)
	s_and_b32 s2, s2, s3
	s_and_b32 vcc_lo, exec_lo, s2
	s_cbranch_vccnz .LBB12_6
; %bb.1:
	s_load_b64 s[2:3], s[0:1], 0x0
	v_bfe_u32 v2, v0, 10, 10
	v_and_b32_e32 v3, 0x3ff, v0
	v_mov_b32_e32 v1, 0
	s_delay_alu instid0(VALU_DEP_3) | instskip(NEXT) | instid1(VALU_DEP_3)
	v_lshl_add_u32 v0, s14, 3, v2
	v_lshl_add_u32 v2, s13, 7, v3
	s_waitcnt lgkmcnt(0)
	s_ashr_i32 s13, s3, 31
	s_mov_b32 s12, s3
	s_delay_alu instid0(VALU_DEP_1) | instskip(SKIP_1) | instid1(VALU_DEP_2)
	v_cmp_gt_u32_e64 s2, s2, v2
	v_cmp_gt_i64_e32 vcc_lo, s[12:13], v[0:1]
	s_and_b32 s2, s2, vcc_lo
	s_delay_alu instid0(SALU_CYCLE_1)
	s_and_saveexec_b32 s3, s2
	s_cbranch_execz .LBB12_6
; %bb.2:
	v_mad_u64_u32 v[4:5], null, s10, v0, 0
	s_clause 0x1
	s_load_b64 s[2:3], s[0:1], 0x28
	s_load_b32 s0, s[0:1], 0x3c
	s_or_b32 s1, s4, s5
	v_mov_b32_e32 v3, v1
	s_bitset0_b32 s1, 31
	s_delay_alu instid0(SALU_CYCLE_1) | instskip(SKIP_4) | instid1(VALU_DEP_2)
	s_cmp_lg_u32 s1, 0
	v_mad_u64_u32 v[6:7], null, s11, v0, v[5:6]
	s_cselect_b32 s1, -1, 0
	s_lshl_b64 s[16:17], s[8:9], 3
	v_lshlrev_b64 v[2:3], 3, v[2:3]
	v_mov_b32_e32 v5, v6
	s_waitcnt lgkmcnt(0)
	s_mul_i32 s3, s3, s15
	s_mul_hi_u32 s8, s2, s15
	s_mul_i32 s2, s2, s15
	s_add_i32 s3, s8, s3
	v_lshlrev_b64 v[4:5], 3, v[4:5]
	s_lshl_b64 s[2:3], s[2:3], 3
	s_lshl_b32 s8, s0, 3
	s_add_u32 s0, s16, s2
	s_addc_u32 s2, s17, s3
	s_delay_alu instid0(VALU_DEP_1) | instskip(SKIP_2) | instid1(VALU_DEP_2)
	v_add_co_u32 v4, vcc_lo, s0, v4
	v_add_co_ci_u32_e32 v5, vcc_lo, s2, v5, vcc_lo
	s_mul_i32 s0, s11, s8
	v_add_co_u32 v2, vcc_lo, v4, v2
	s_delay_alu instid0(VALU_DEP_2) | instskip(SKIP_1) | instid1(VALU_DEP_2)
	v_add_co_ci_u32_e32 v3, vcc_lo, v5, v3, vcc_lo
	s_mul_hi_u32 s2, s10, s8
	v_add_co_u32 v2, vcc_lo, v2, s6
	s_delay_alu instid0(VALU_DEP_2) | instskip(SKIP_1) | instid1(VALU_DEP_2)
	v_add_co_ci_u32_e32 v3, vcc_lo, s7, v3, vcc_lo
	s_add_i32 s3, s2, s0
	v_add_co_u32 v2, vcc_lo, v2, 4
	s_delay_alu instid0(VALU_DEP_2)
	v_add_co_ci_u32_e32 v3, vcc_lo, 0, v3, vcc_lo
	s_mul_i32 s2, s10, s8
	s_mov_b32 s6, 0
	s_lshl_b64 s[2:3], s[2:3], 3
	s_set_inst_prefetch_distance 0x1
	s_branch .LBB12_4
	.p2align	6
.LBB12_3:                               ;   in Loop: Header=BB12_4 Depth=1
	v_add_co_u32 v0, vcc_lo, v0, s8
	v_add_co_ci_u32_e32 v1, vcc_lo, 0, v1, vcc_lo
	global_store_b64 v[2:3], v[4:5], off offset:-4
	v_add_co_u32 v2, s0, v2, s2
	v_cmp_le_i64_e32 vcc_lo, s[12:13], v[0:1]
	v_add_co_ci_u32_e64 v3, s0, s3, v3, s0
	s_or_b32 s6, vcc_lo, s6
	s_delay_alu instid0(SALU_CYCLE_1)
	s_and_not1_b32 exec_lo, exec_lo, s6
	s_cbranch_execz .LBB12_6
.LBB12_4:                               ; =>This Inner Loop Header: Depth=1
	v_dual_mov_b32 v5, 0 :: v_dual_mov_b32 v4, 0
	s_and_not1_b32 vcc_lo, exec_lo, s1
	s_cbranch_vccnz .LBB12_3
; %bb.5:                                ;   in Loop: Header=BB12_4 Depth=1
	global_load_b64 v[6:7], v[2:3], off offset:-4
	s_waitcnt vmcnt(0)
	v_mul_f32_e32 v5, s4, v7
	s_delay_alu instid0(VALU_DEP_1) | instskip(NEXT) | instid1(VALU_DEP_1)
	v_dual_mul_f32 v4, s5, v7 :: v_dual_fmac_f32 v5, s5, v6
	v_fma_f32 v4, v6, s4, -v4
	s_branch .LBB12_3
.LBB12_6:
	s_set_inst_prefetch_distance 0x2
	s_nop 0
	s_sendmsg sendmsg(MSG_DEALLOC_VGPRS)
	s_endpgm
	.section	.rodata,"a",@progbits
	.p2align	6, 0x0
	.amdhsa_kernel _ZL25rocblas_symm_scale_kernelILi128ELi8EPK19rocblas_complex_numIfEPS1_EviiT1_T2_llli
		.amdhsa_group_segment_fixed_size 0
		.amdhsa_private_segment_fixed_size 0
		.amdhsa_kernarg_size 312
		.amdhsa_user_sgpr_count 13
		.amdhsa_user_sgpr_dispatch_ptr 0
		.amdhsa_user_sgpr_queue_ptr 0
		.amdhsa_user_sgpr_kernarg_segment_ptr 1
		.amdhsa_user_sgpr_dispatch_id 0
		.amdhsa_user_sgpr_private_segment_size 0
		.amdhsa_wavefront_size32 1
		.amdhsa_uses_dynamic_stack 0
		.amdhsa_enable_private_segment 0
		.amdhsa_system_sgpr_workgroup_id_x 1
		.amdhsa_system_sgpr_workgroup_id_y 1
		.amdhsa_system_sgpr_workgroup_id_z 1
		.amdhsa_system_sgpr_workgroup_info 0
		.amdhsa_system_vgpr_workitem_id 1
		.amdhsa_next_free_vgpr 8
		.amdhsa_next_free_sgpr 18
		.amdhsa_reserve_vcc 1
		.amdhsa_float_round_mode_32 0
		.amdhsa_float_round_mode_16_64 0
		.amdhsa_float_denorm_mode_32 3
		.amdhsa_float_denorm_mode_16_64 3
		.amdhsa_dx10_clamp 1
		.amdhsa_ieee_mode 1
		.amdhsa_fp16_overflow 0
		.amdhsa_workgroup_processor_mode 1
		.amdhsa_memory_ordered 1
		.amdhsa_forward_progress 0
		.amdhsa_shared_vgpr_count 0
		.amdhsa_exception_fp_ieee_invalid_op 0
		.amdhsa_exception_fp_denorm_src 0
		.amdhsa_exception_fp_ieee_div_zero 0
		.amdhsa_exception_fp_ieee_overflow 0
		.amdhsa_exception_fp_ieee_underflow 0
		.amdhsa_exception_fp_ieee_inexact 0
		.amdhsa_exception_int_div_zero 0
	.end_amdhsa_kernel
	.section	.text._ZL25rocblas_symm_scale_kernelILi128ELi8EPK19rocblas_complex_numIfEPS1_EviiT1_T2_llli,"axG",@progbits,_ZL25rocblas_symm_scale_kernelILi128ELi8EPK19rocblas_complex_numIfEPS1_EviiT1_T2_llli,comdat
.Lfunc_end12:
	.size	_ZL25rocblas_symm_scale_kernelILi128ELi8EPK19rocblas_complex_numIfEPS1_EviiT1_T2_llli, .Lfunc_end12-_ZL25rocblas_symm_scale_kernelILi128ELi8EPK19rocblas_complex_numIfEPS1_EviiT1_T2_llli
                                        ; -- End function
	.section	.AMDGPU.csdata,"",@progbits
; Kernel info:
; codeLenInByte = 492
; NumSgprs: 20
; NumVgprs: 8
; ScratchSize: 0
; MemoryBound: 0
; FloatMode: 240
; IeeeMode: 1
; LDSByteSize: 0 bytes/workgroup (compile time only)
; SGPRBlocks: 2
; VGPRBlocks: 0
; NumSGPRsForWavesPerEU: 20
; NumVGPRsForWavesPerEU: 8
; Occupancy: 16
; WaveLimiterHint : 0
; COMPUTE_PGM_RSRC2:SCRATCH_EN: 0
; COMPUTE_PGM_RSRC2:USER_SGPR: 13
; COMPUTE_PGM_RSRC2:TRAP_HANDLER: 0
; COMPUTE_PGM_RSRC2:TGID_X_EN: 1
; COMPUTE_PGM_RSRC2:TGID_Y_EN: 1
; COMPUTE_PGM_RSRC2:TGID_Z_EN: 1
; COMPUTE_PGM_RSRC2:TIDIG_COMP_CNT: 1
	.section	.text._ZL24rocblas_symm_hemm_kernelILb0ELb0ELi32EPK19rocblas_complex_numIfES3_PS1_EvbiiT2_T3_lllS6_lllT4_llli,"axG",@progbits,_ZL24rocblas_symm_hemm_kernelILb0ELb0ELi32EPK19rocblas_complex_numIfES3_PS1_EvbiiT2_T3_lllS6_lllT4_llli,comdat
	.globl	_ZL24rocblas_symm_hemm_kernelILb0ELb0ELi32EPK19rocblas_complex_numIfES3_PS1_EvbiiT2_T3_lllS6_lllT4_llli ; -- Begin function _ZL24rocblas_symm_hemm_kernelILb0ELb0ELi32EPK19rocblas_complex_numIfES3_PS1_EvbiiT2_T3_lllS6_lllT4_llli
	.p2align	8
	.type	_ZL24rocblas_symm_hemm_kernelILb0ELb0ELi32EPK19rocblas_complex_numIfES3_PS1_EvbiiT2_T3_lllS6_lllT4_llli,@function
_ZL24rocblas_symm_hemm_kernelILb0ELb0ELi32EPK19rocblas_complex_numIfES3_PS1_EvbiiT2_T3_lllS6_lllT4_llli: ; @_ZL24rocblas_symm_hemm_kernelILb0ELb0ELi32EPK19rocblas_complex_numIfES3_PS1_EvbiiT2_T3_lllS6_lllT4_llli
; %bb.0:
	s_load_b512 s[16:31], s[0:1], 0x10
	s_waitcnt lgkmcnt(0)
	s_load_b64 s[16:17], s[16:17], 0x0
	s_waitcnt lgkmcnt(0)
	v_cmp_eq_f32_e64 s2, s16, 0
	v_cmp_eq_f32_e64 s3, s17, 0
	s_delay_alu instid0(VALU_DEP_1) | instskip(NEXT) | instid1(SALU_CYCLE_1)
	s_and_b32 s2, s2, s3
	s_and_b32 vcc_lo, exec_lo, s2
	s_cbranch_vccnz .LBB13_15
; %bb.1:
	s_load_b128 s[36:39], s[0:1], 0x0
	s_waitcnt lgkmcnt(0)
	s_add_i32 s2, s38, -1
	s_delay_alu instid0(SALU_CYCLE_1) | instskip(NEXT) | instid1(SALU_CYCLE_1)
	s_ashr_i32 s3, s2, 31
	s_lshr_b32 s3, s3, 27
	s_delay_alu instid0(SALU_CYCLE_1) | instskip(NEXT) | instid1(SALU_CYCLE_1)
	s_add_i32 s2, s2, s3
	s_ashr_i32 s3, s2, 5
	s_delay_alu instid0(SALU_CYCLE_1)
	s_cmp_gt_i32 s14, s3
	s_cbranch_scc1 .LBB13_15
; %bb.2:
	s_load_b256 s[4:11], s[0:1], 0x50
	s_mul_i32 s2, s15, s25
	s_mul_hi_u32 s12, s15, s24
	s_load_b64 s[34:35], s[0:1], 0x70
	s_mul_i32 s24, s15, s24
	s_add_i32 s25, s12, s2
	s_load_b32 s12, s[0:1], 0x84
	v_and_b32_e32 v9, 0x3ff, v0
	s_lshl_b64 s[24:25], s[24:25], 3
	v_bfe_u32 v10, v0, 10, 10
	s_add_u32 s2, s18, s24
	s_addc_u32 s18, s19, s25
	s_lshl_b64 s[0:1], s[20:21], 3
	v_lshl_add_u32 v0, s13, 5, v9
	s_add_u32 s13, s2, s0
	s_addc_u32 s18, s18, s1
	v_lshlrev_b32_e32 v3, 3, v10
	v_lshlrev_b32_e32 v11, 8, v9
	v_ashrrev_i32_e32 v1, 31, v0
	s_waitcnt lgkmcnt(0)
	s_mul_i32 s1, s15, s5
	s_mul_hi_u32 s2, s15, s4
	s_mul_i32 s0, s15, s4
	s_add_i32 s1, s2, s1
	s_mul_i32 s2, s15, s35
	s_lshl_b64 s[0:1], s[0:1], 3
	s_mul_hi_u32 s19, s15, s34
	s_add_u32 s4, s26, s0
	s_addc_u32 s5, s27, s1
	s_lshl_b64 s[0:1], s[28:29], 3
	s_mul_i32 s20, s15, s34
	s_add_u32 s4, s4, s0
	s_addc_u32 s5, s5, s1
	s_bitcmp1_b32 s36, 0
	v_lshlrev_b64 v[1:2], 3, v[0:1]
	s_cselect_b32 s0, -1, 0
	s_add_i32 s21, s19, s2
	v_or_b32_e32 v12, 0x2000, v3
	s_lshl_b64 s[20:21], s[20:21], 3
	v_add_nc_u32_e32 v13, v11, v3
	s_add_u32 s1, s6, s20
	s_addc_u32 s2, s7, s21
	s_lshl_b64 s[6:7], s[8:9], 3
	v_add_nc_u32_e32 v14, v12, v11
	s_add_u32 s6, s1, s6
	s_addc_u32 s2, s2, s7
	v_add_co_u32 v15, vcc_lo, s6, v1
	v_cmp_gt_i32_e64 s1, s37, v0
	v_add_co_ci_u32_e32 v16, vcc_lo, s2, v2, vcc_lo
	s_cmp_gt_i32 s37, 0
	s_cselect_b32 s6, -1, 0
	s_branch .LBB13_4
.LBB13_3:                               ;   in Loop: Header=BB13_4 Depth=1
	s_add_i32 s14, s14, s12
	s_delay_alu instid0(SALU_CYCLE_1)
	s_cmp_gt_i32 s14, s3
	s_cbranch_scc1 .LBB13_15
.LBB13_4:                               ; =>This Loop Header: Depth=1
                                        ;     Child Loop BB13_7 Depth 2
                                        ;       Child Loop BB13_13 Depth 3
	s_and_not1_b32 vcc_lo, exec_lo, s6
	s_cbranch_vccnz .LBB13_3
; %bb.5:                                ;   in Loop: Header=BB13_4 Depth=1
	v_lshl_add_u32 v5, s14, 5, v10
	s_mov_b32 s8, 0
	s_delay_alu instid0(VALU_DEP_1) | instskip(SKIP_3) | instid1(VALU_DEP_4)
	v_ashrrev_i32_e32 v6, 31, v5
	v_mul_lo_u32 v7, v5, s31
	v_mad_u64_u32 v[1:2], null, v5, s30, 0
	v_mul_lo_u32 v17, v5, s11
	v_mul_lo_u32 v8, v6, s30
	v_mad_u64_u32 v[3:4], null, v5, s10, 0
	v_mul_lo_u32 v6, v6, s10
	v_cmp_gt_i32_e32 vcc_lo, s38, v5
	s_delay_alu instid0(VALU_DEP_4) | instskip(SKIP_1) | instid1(VALU_DEP_3)
	v_add3_u32 v2, v2, v7, v8
	s_and_b32 s7, s1, vcc_lo
	v_add3_u32 v4, v4, v17, v6
	s_delay_alu instid0(VALU_DEP_2) | instskip(NEXT) | instid1(VALU_DEP_2)
	v_lshlrev_b64 v[1:2], 3, v[1:2]
	v_lshlrev_b64 v[3:4], 3, v[3:4]
	s_delay_alu instid0(VALU_DEP_2) | instskip(NEXT) | instid1(VALU_DEP_1)
	v_add_co_u32 v17, s2, s4, v1
	v_add_co_ci_u32_e64 v18, s2, s5, v2, s2
	s_delay_alu instid0(VALU_DEP_3) | instskip(NEXT) | instid1(VALU_DEP_1)
	v_add_co_u32 v1, s2, v15, v3
	v_add_co_ci_u32_e64 v2, s2, v16, v4, s2
	s_branch .LBB13_7
.LBB13_6:                               ;   in Loop: Header=BB13_7 Depth=2
	s_or_b32 exec_lo, exec_lo, s2
	s_add_i32 s8, s8, 32
	s_waitcnt_vscnt null, 0x0
	s_cmp_ge_i32 s8, s37
	s_barrier
	buffer_gl0_inv
	s_cbranch_scc1 .LBB13_3
.LBB13_7:                               ;   Parent Loop BB13_4 Depth=1
                                        ; =>  This Loop Header: Depth=2
                                        ;       Child Loop BB13_13 Depth 3
	v_add_nc_u32_e32 v3, s8, v10
	s_delay_alu instid0(VALU_DEP_1) | instskip(SKIP_1) | instid1(VALU_DEP_1)
	v_cndmask_b32_e64 v4, v3, v0, s0
	v_cndmask_b32_e64 v5, v0, v3, s0
	v_cmp_gt_i32_e64 s2, v4, v5
	v_mov_b32_e32 v5, 0
	s_delay_alu instid0(VALU_DEP_2) | instskip(SKIP_2) | instid1(VALU_DEP_2)
	v_cndmask_b32_e64 v4, v0, v3, s2
	v_cndmask_b32_e64 v7, v3, v0, s2
	v_mov_b32_e32 v3, 0
	v_max_i32_e32 v6, v4, v7
	s_delay_alu instid0(VALU_DEP_1) | instskip(SKIP_1) | instid1(VALU_DEP_2)
	v_cmp_gt_i32_e64 s2, s37, v6
	v_mov_b32_e32 v6, 0
	s_and_saveexec_b32 s9, s2
	s_cbranch_execz .LBB13_9
; %bb.8:                                ;   in Loop: Header=BB13_7 Depth=2
	v_ashrrev_i32_e32 v5, 31, v7
	v_mul_lo_u32 v6, v7, s23
	v_mad_u64_u32 v[19:20], null, v7, s22, 0
	s_delay_alu instid0(VALU_DEP_3) | instskip(NEXT) | instid1(VALU_DEP_1)
	v_mul_lo_u32 v5, v5, s22
	v_add3_u32 v20, v20, v6, v5
	v_ashrrev_i32_e32 v5, 31, v4
	s_delay_alu instid0(VALU_DEP_2) | instskip(NEXT) | instid1(VALU_DEP_2)
	v_lshlrev_b64 v[6:7], 3, v[19:20]
	v_lshlrev_b64 v[4:5], 3, v[4:5]
	s_delay_alu instid0(VALU_DEP_2) | instskip(NEXT) | instid1(VALU_DEP_1)
	v_add_co_u32 v6, s2, s13, v6
	v_add_co_ci_u32_e64 v7, s2, s18, v7, s2
	s_delay_alu instid0(VALU_DEP_2) | instskip(NEXT) | instid1(VALU_DEP_1)
	v_add_co_u32 v4, s2, v6, v4
	v_add_co_ci_u32_e64 v5, s2, v7, v5, s2
	global_load_b64 v[5:6], v[4:5], off
.LBB13_9:                               ;   in Loop: Header=BB13_7 Depth=2
	s_or_b32 exec_lo, exec_lo, s9
	v_dual_mov_b32 v4, 0 :: v_dual_add_nc_u32 v7, s8, v9
	s_waitcnt vmcnt(0)
	ds_store_b64 v13, v[5:6]
	v_cmp_gt_i32_e64 s2, s37, v7
	s_delay_alu instid0(VALU_DEP_1) | instskip(NEXT) | instid1(SALU_CYCLE_1)
	s_and_b32 s2, s2, vcc_lo
	s_and_saveexec_b32 s9, s2
	s_cbranch_execz .LBB13_11
; %bb.10:                               ;   in Loop: Header=BB13_7 Depth=2
	v_ashrrev_i32_e32 v8, 31, v7
	s_delay_alu instid0(VALU_DEP_1) | instskip(NEXT) | instid1(VALU_DEP_1)
	v_lshlrev_b64 v[3:4], 3, v[7:8]
	v_add_co_u32 v3, s2, v17, v3
	s_delay_alu instid0(VALU_DEP_1)
	v_add_co_ci_u32_e64 v4, s2, v18, v4, s2
	global_load_b64 v[3:4], v[3:4], off
.LBB13_11:                              ;   in Loop: Header=BB13_7 Depth=2
	s_or_b32 exec_lo, exec_lo, s9
	s_waitcnt vmcnt(0)
	ds_store_b64 v14, v[3:4]
	s_waitcnt lgkmcnt(0)
	s_barrier
	buffer_gl0_inv
	s_and_saveexec_b32 s2, s7
	s_cbranch_execz .LBB13_6
; %bb.12:                               ;   in Loop: Header=BB13_7 Depth=2
	v_dual_mov_b32 v4, 0 :: v_dual_mov_b32 v3, v12
	v_mov_b32_e32 v5, 0
	s_mov_b32 s9, 0
.LBB13_13:                              ;   Parent Loop BB13_4 Depth=1
                                        ;     Parent Loop BB13_7 Depth=2
                                        ; =>    This Inner Loop Header: Depth=3
	s_delay_alu instid0(SALU_CYCLE_1)
	v_add_nc_u32_e32 v6, s9, v11
	ds_load_2addr_b64 v[19:22], v3 offset1:32
	ds_load_2addr_b64 v[23:26], v3 offset0:64 offset1:96
	ds_load_2addr_b64 v[27:30], v3 offset0:128 offset1:160
	;; [unrolled: 1-line block ×3, first 2 shown]
	ds_load_b128 v[35:38], v6
	ds_load_b128 v[39:42], v6 offset:16
	ds_load_b128 v[43:46], v6 offset:32
	;; [unrolled: 1-line block ×3, first 2 shown]
	s_add_i32 s9, s9, 64
	v_add_nc_u32_e32 v3, 0x800, v3
	s_cmpk_eq_i32 s9, 0x100
	s_waitcnt lgkmcnt(3)
	v_mul_f32_e32 v7, v19, v36
	s_waitcnt lgkmcnt(2)
	v_dual_mul_f32 v6, v20, v36 :: v_dual_mul_f32 v51, v26, v42
	v_mul_f32_e32 v8, v22, v38
	s_delay_alu instid0(VALU_DEP_3) | instskip(NEXT) | instid1(VALU_DEP_3)
	v_dual_mul_f32 v36, v21, v38 :: v_dual_fmac_f32 v7, v20, v35
	v_fma_f32 v6, v19, v35, -v6
	s_waitcnt lgkmcnt(1)
	v_dual_mul_f32 v38, v24, v40 :: v_dual_mul_f32 v19, v30, v46
	s_delay_alu instid0(VALU_DEP_3) | instskip(SKIP_2) | instid1(VALU_DEP_4)
	v_dual_mul_f32 v40, v23, v40 :: v_dual_add_f32 v5, v5, v7
	v_fma_f32 v8, v21, v37, -v8
	v_add_f32_e32 v4, v4, v6
	v_fma_f32 v7, v23, v39, -v38
	s_delay_alu instid0(VALU_DEP_4) | instskip(SKIP_4) | instid1(VALU_DEP_1)
	v_fmac_f32_e32 v40, v24, v39
	v_fma_f32 v20, v25, v41, -v51
	v_fma_f32 v19, v29, v45, -v19
	v_add_f32_e32 v4, v4, v8
	s_waitcnt lgkmcnt(0)
	v_dual_add_f32 v4, v4, v7 :: v_dual_mul_f32 v7, v31, v48
	v_fmac_f32_e32 v36, v22, v37
	v_mul_f32_e32 v42, v25, v42
	s_delay_alu instid0(VALU_DEP_3) | instskip(NEXT) | instid1(VALU_DEP_4)
	v_add_f32_e32 v4, v4, v20
	v_fmac_f32_e32 v7, v32, v47
	s_delay_alu instid0(VALU_DEP_3) | instskip(NEXT) | instid1(VALU_DEP_1)
	v_dual_add_f32 v5, v5, v36 :: v_dual_fmac_f32 v42, v26, v41
	v_dual_mul_f32 v20, v34, v50 :: v_dual_add_f32 v5, v5, v40
	v_mul_f32_e32 v52, v28, v44
	s_delay_alu instid0(VALU_DEP_2) | instskip(NEXT) | instid1(VALU_DEP_2)
	v_dual_mul_f32 v44, v27, v44 :: v_dual_add_f32 v5, v5, v42
	v_fma_f32 v21, v27, v43, -v52
	s_delay_alu instid0(VALU_DEP_1) | instskip(SKIP_1) | instid1(VALU_DEP_4)
	v_dual_add_f32 v4, v4, v21 :: v_dual_mul_f32 v21, v33, v50
	v_mul_f32_e32 v6, v29, v46
	v_fmac_f32_e32 v44, v28, v43
	s_delay_alu instid0(VALU_DEP_3) | instskip(NEXT) | instid1(VALU_DEP_2)
	v_dual_add_f32 v4, v4, v19 :: v_dual_fmac_f32 v21, v34, v49
	v_dual_fmac_f32 v6, v30, v45 :: v_dual_add_f32 v5, v5, v44
	s_delay_alu instid0(VALU_DEP_1) | instskip(SKIP_1) | instid1(VALU_DEP_2)
	v_dual_add_f32 v5, v5, v6 :: v_dual_mul_f32 v8, v32, v48
	v_fma_f32 v6, v33, v49, -v20
	v_add_f32_e32 v5, v5, v7
	s_delay_alu instid0(VALU_DEP_3) | instskip(NEXT) | instid1(VALU_DEP_1)
	v_fma_f32 v8, v31, v47, -v8
	v_dual_add_f32 v5, v5, v21 :: v_dual_add_f32 v4, v4, v8
	s_delay_alu instid0(VALU_DEP_1)
	v_add_f32_e32 v4, v4, v6
	s_cbranch_scc0 .LBB13_13
; %bb.14:                               ;   in Loop: Header=BB13_7 Depth=2
	global_load_b64 v[6:7], v[1:2], off
	v_dual_mul_f32 v3, s17, v5 :: v_dual_mul_f32 v8, s17, v4
	s_delay_alu instid0(VALU_DEP_1) | instskip(SKIP_1) | instid1(VALU_DEP_1)
	v_fma_f32 v3, s16, v4, -v3
	s_waitcnt vmcnt(0)
	v_dual_fmac_f32 v8, s16, v5 :: v_dual_add_f32 v3, v3, v6
	s_delay_alu instid0(VALU_DEP_1)
	v_add_f32_e32 v4, v8, v7
	global_store_b64 v[1:2], v[3:4], off
	s_branch .LBB13_6
.LBB13_15:
	s_endpgm
	.section	.rodata,"a",@progbits
	.p2align	6, 0x0
	.amdhsa_kernel _ZL24rocblas_symm_hemm_kernelILb0ELb0ELi32EPK19rocblas_complex_numIfES3_PS1_EvbiiT2_T3_lllS6_lllT4_llli
		.amdhsa_group_segment_fixed_size 16384
		.amdhsa_private_segment_fixed_size 0
		.amdhsa_kernarg_size 384
		.amdhsa_user_sgpr_count 13
		.amdhsa_user_sgpr_dispatch_ptr 0
		.amdhsa_user_sgpr_queue_ptr 0
		.amdhsa_user_sgpr_kernarg_segment_ptr 1
		.amdhsa_user_sgpr_dispatch_id 0
		.amdhsa_user_sgpr_private_segment_size 0
		.amdhsa_wavefront_size32 1
		.amdhsa_uses_dynamic_stack 0
		.amdhsa_enable_private_segment 0
		.amdhsa_system_sgpr_workgroup_id_x 1
		.amdhsa_system_sgpr_workgroup_id_y 1
		.amdhsa_system_sgpr_workgroup_id_z 1
		.amdhsa_system_sgpr_workgroup_info 0
		.amdhsa_system_vgpr_workitem_id 1
		.amdhsa_next_free_vgpr 53
		.amdhsa_next_free_sgpr 40
		.amdhsa_reserve_vcc 1
		.amdhsa_float_round_mode_32 0
		.amdhsa_float_round_mode_16_64 0
		.amdhsa_float_denorm_mode_32 3
		.amdhsa_float_denorm_mode_16_64 3
		.amdhsa_dx10_clamp 1
		.amdhsa_ieee_mode 1
		.amdhsa_fp16_overflow 0
		.amdhsa_workgroup_processor_mode 1
		.amdhsa_memory_ordered 1
		.amdhsa_forward_progress 0
		.amdhsa_shared_vgpr_count 0
		.amdhsa_exception_fp_ieee_invalid_op 0
		.amdhsa_exception_fp_denorm_src 0
		.amdhsa_exception_fp_ieee_div_zero 0
		.amdhsa_exception_fp_ieee_overflow 0
		.amdhsa_exception_fp_ieee_underflow 0
		.amdhsa_exception_fp_ieee_inexact 0
		.amdhsa_exception_int_div_zero 0
	.end_amdhsa_kernel
	.section	.text._ZL24rocblas_symm_hemm_kernelILb0ELb0ELi32EPK19rocblas_complex_numIfES3_PS1_EvbiiT2_T3_lllS6_lllT4_llli,"axG",@progbits,_ZL24rocblas_symm_hemm_kernelILb0ELb0ELi32EPK19rocblas_complex_numIfES3_PS1_EvbiiT2_T3_lllS6_lllT4_llli,comdat
.Lfunc_end13:
	.size	_ZL24rocblas_symm_hemm_kernelILb0ELb0ELi32EPK19rocblas_complex_numIfES3_PS1_EvbiiT2_T3_lllS6_lllT4_llli, .Lfunc_end13-_ZL24rocblas_symm_hemm_kernelILb0ELb0ELi32EPK19rocblas_complex_numIfES3_PS1_EvbiiT2_T3_lllS6_lllT4_llli
                                        ; -- End function
	.section	.AMDGPU.csdata,"",@progbits
; Kernel info:
; codeLenInByte = 1360
; NumSgprs: 42
; NumVgprs: 53
; ScratchSize: 0
; MemoryBound: 0
; FloatMode: 240
; IeeeMode: 1
; LDSByteSize: 16384 bytes/workgroup (compile time only)
; SGPRBlocks: 5
; VGPRBlocks: 6
; NumSGPRsForWavesPerEU: 42
; NumVGPRsForWavesPerEU: 53
; Occupancy: 16
; WaveLimiterHint : 0
; COMPUTE_PGM_RSRC2:SCRATCH_EN: 0
; COMPUTE_PGM_RSRC2:USER_SGPR: 13
; COMPUTE_PGM_RSRC2:TRAP_HANDLER: 0
; COMPUTE_PGM_RSRC2:TGID_X_EN: 1
; COMPUTE_PGM_RSRC2:TGID_Y_EN: 1
; COMPUTE_PGM_RSRC2:TGID_Z_EN: 1
; COMPUTE_PGM_RSRC2:TIDIG_COMP_CNT: 1
	.section	.text._ZL24rocblas_symm_hemm_kernelILb0ELb1ELi32EPK19rocblas_complex_numIfES3_PS1_EvbiiT2_T3_lllS6_lllT4_llli,"axG",@progbits,_ZL24rocblas_symm_hemm_kernelILb0ELb1ELi32EPK19rocblas_complex_numIfES3_PS1_EvbiiT2_T3_lllS6_lllT4_llli,comdat
	.globl	_ZL24rocblas_symm_hemm_kernelILb0ELb1ELi32EPK19rocblas_complex_numIfES3_PS1_EvbiiT2_T3_lllS6_lllT4_llli ; -- Begin function _ZL24rocblas_symm_hemm_kernelILb0ELb1ELi32EPK19rocblas_complex_numIfES3_PS1_EvbiiT2_T3_lllS6_lllT4_llli
	.p2align	8
	.type	_ZL24rocblas_symm_hemm_kernelILb0ELb1ELi32EPK19rocblas_complex_numIfES3_PS1_EvbiiT2_T3_lllS6_lllT4_llli,@function
_ZL24rocblas_symm_hemm_kernelILb0ELb1ELi32EPK19rocblas_complex_numIfES3_PS1_EvbiiT2_T3_lllS6_lllT4_llli: ; @_ZL24rocblas_symm_hemm_kernelILb0ELb1ELi32EPK19rocblas_complex_numIfES3_PS1_EvbiiT2_T3_lllS6_lllT4_llli
; %bb.0:
	s_load_b512 s[16:31], s[0:1], 0x10
	s_waitcnt lgkmcnt(0)
	s_load_b64 s[16:17], s[16:17], 0x0
	s_waitcnt lgkmcnt(0)
	v_cmp_eq_f32_e64 s2, s16, 0
	v_cmp_eq_f32_e64 s3, s17, 0
	s_delay_alu instid0(VALU_DEP_1) | instskip(NEXT) | instid1(SALU_CYCLE_1)
	s_and_b32 s2, s2, s3
	s_and_b32 vcc_lo, exec_lo, s2
	s_cbranch_vccnz .LBB14_15
; %bb.1:
	s_load_b128 s[36:39], s[0:1], 0x0
	s_waitcnt lgkmcnt(0)
	s_add_i32 s2, s38, -1
	s_delay_alu instid0(SALU_CYCLE_1) | instskip(NEXT) | instid1(SALU_CYCLE_1)
	s_ashr_i32 s3, s2, 31
	s_lshr_b32 s3, s3, 27
	s_delay_alu instid0(SALU_CYCLE_1) | instskip(NEXT) | instid1(SALU_CYCLE_1)
	s_add_i32 s2, s2, s3
	s_ashr_i32 s3, s2, 5
	s_delay_alu instid0(SALU_CYCLE_1)
	s_cmp_gt_i32 s14, s3
	s_cbranch_scc1 .LBB14_15
; %bb.2:
	s_clause 0x1
	s_load_b64 s[34:35], s[0:1], 0x70
	s_load_b256 s[4:11], s[0:1], 0x50
	s_mul_i32 s2, s15, s25
	s_mul_hi_u32 s12, s15, s24
	s_mul_i32 s24, s15, s24
	s_add_i32 s25, s12, s2
	s_load_b32 s12, s[0:1], 0x84
	s_lshl_b64 s[24:25], s[24:25], 3
	v_and_b32_e32 v8, 0x3ff, v0
	s_add_u32 s2, s18, s24
	s_addc_u32 s24, s19, s25
	s_lshl_b64 s[18:19], s[20:21], 3
	v_bfe_u32 v9, v0, 10, 10
	s_add_u32 s18, s2, s18
	s_addc_u32 s19, s24, s19
	s_bitcmp1_b32 s36, 0
	v_lshl_add_u32 v1, s13, 5, v8
	s_cselect_b32 s0, -1, 0
	v_lshlrev_b32_e32 v0, 3, v9
	v_lshlrev_b32_e32 v10, 8, v8
	s_waitcnt lgkmcnt(0)
	s_mul_i32 s1, s15, s35
	s_mul_hi_u32 s2, s15, s34
	s_mul_i32 s20, s15, s34
	s_add_i32 s21, s2, s1
	s_mul_i32 s1, s15, s5
	s_lshl_b64 s[20:21], s[20:21], 3
	s_mul_hi_u32 s2, s15, s4
	s_add_u32 s5, s6, s20
	s_addc_u32 s13, s7, s21
	s_lshl_b64 s[6:7], s[8:9], 3
	v_ashrrev_i32_e32 v2, 31, v1
	s_add_u32 s6, s5, s6
	s_mul_i32 s4, s15, s4
	s_addc_u32 s7, s13, s7
	s_add_i32 s5, s2, s1
	v_lshlrev_b64 v[2:3], 3, v[1:2]
	s_lshl_b64 s[4:5], s[4:5], 3
	v_or_b32_e32 v11, 0x2000, v0
	s_add_u32 s1, s26, s4
	s_addc_u32 s2, s27, s5
	s_lshl_b64 s[4:5], s[28:29], 3
	v_add_nc_u32_e32 v14, v10, v0
	s_add_u32 s4, s1, s4
	s_addc_u32 s2, s2, s5
	v_add_co_u32 v12, vcc_lo, s4, v2
	v_add_co_ci_u32_e32 v13, vcc_lo, s2, v3, vcc_lo
	v_add_co_u32 v16, vcc_lo, s6, v2
	v_cmp_gt_i32_e64 s1, s37, v1
	v_add_nc_u32_e32 v15, v11, v10
	v_add_co_ci_u32_e32 v17, vcc_lo, s7, v3, vcc_lo
	s_cmp_gt_i32 s38, 0
	s_cselect_b32 s4, -1, 0
	s_branch .LBB14_4
.LBB14_3:                               ;   in Loop: Header=BB14_4 Depth=1
	s_add_i32 s14, s14, s12
	s_delay_alu instid0(SALU_CYCLE_1)
	s_cmp_gt_i32 s14, s3
	s_cbranch_scc1 .LBB14_15
.LBB14_4:                               ; =>This Loop Header: Depth=1
                                        ;     Child Loop BB14_7 Depth 2
                                        ;       Child Loop BB14_13 Depth 3
	s_and_not1_b32 vcc_lo, exec_lo, s4
	s_cbranch_vccnz .LBB14_3
; %bb.5:                                ;   in Loop: Header=BB14_4 Depth=1
	v_lshl_add_u32 v18, s14, 5, v9
	s_mov_b32 s5, 0
	s_delay_alu instid0(VALU_DEP_1) | instskip(SKIP_3) | instid1(VALU_DEP_4)
	v_ashrrev_i32_e32 v2, 31, v18
	v_mul_lo_u32 v3, v18, s11
	v_mad_u64_u32 v[0:1], null, v18, s10, 0
	v_cmp_gt_i32_e32 vcc_lo, s38, v18
	v_mul_lo_u32 v2, v2, s10
	s_delay_alu instid0(VALU_DEP_1) | instskip(NEXT) | instid1(VALU_DEP_1)
	v_add3_u32 v1, v1, v3, v2
	v_lshlrev_b64 v[0:1], 3, v[0:1]
	s_delay_alu instid0(VALU_DEP_1) | instskip(NEXT) | instid1(VALU_DEP_1)
	v_add_co_u32 v0, s2, v16, v0
	v_add_co_ci_u32_e64 v1, s2, v17, v1, s2
	s_and_b32 s2, s1, vcc_lo
	s_branch .LBB14_7
.LBB14_6:                               ;   in Loop: Header=BB14_7 Depth=2
	s_or_b32 exec_lo, exec_lo, s6
	s_add_i32 s5, s5, 32
	s_waitcnt_vscnt null, 0x0
	s_cmp_ge_i32 s5, s38
	s_barrier
	buffer_gl0_inv
	s_cbranch_scc1 .LBB14_3
.LBB14_7:                               ;   Parent Loop BB14_4 Depth=1
                                        ; =>  This Loop Header: Depth=2
                                        ;       Child Loop BB14_13 Depth 3
	v_dual_mov_b32 v2, 0 :: v_dual_add_nc_u32 v3, s5, v9
	v_dual_mov_b32 v4, 0 :: v_dual_mov_b32 v5, 0
	s_delay_alu instid0(VALU_DEP_2) | instskip(SKIP_1) | instid1(SALU_CYCLE_1)
	v_cmp_gt_i32_e32 vcc_lo, s38, v3
	s_and_b32 s7, s1, vcc_lo
	s_and_saveexec_b32 s6, s7
	s_cbranch_execz .LBB14_9
; %bb.8:                                ;   in Loop: Header=BB14_7 Depth=2
	v_ashrrev_i32_e32 v6, 31, v3
	v_mul_lo_u32 v7, v3, s31
	v_mad_u64_u32 v[4:5], null, v3, s30, 0
	s_delay_alu instid0(VALU_DEP_3) | instskip(NEXT) | instid1(VALU_DEP_1)
	v_mul_lo_u32 v3, v6, s30
	v_add3_u32 v5, v5, v7, v3
	s_delay_alu instid0(VALU_DEP_1) | instskip(NEXT) | instid1(VALU_DEP_1)
	v_lshlrev_b64 v[3:4], 3, v[4:5]
	v_add_co_u32 v3, vcc_lo, v12, v3
	s_delay_alu instid0(VALU_DEP_2)
	v_add_co_ci_u32_e32 v4, vcc_lo, v13, v4, vcc_lo
	global_load_b64 v[4:5], v[3:4], off
.LBB14_9:                               ;   in Loop: Header=BB14_7 Depth=2
	s_or_b32 exec_lo, exec_lo, s6
	v_add_nc_u32_e32 v3, s5, v8
	s_waitcnt vmcnt(0)
	ds_store_b64 v14, v[4:5]
	v_cndmask_b32_e64 v6, v18, v3, s0
	v_cndmask_b32_e64 v7, v3, v18, s0
	s_delay_alu instid0(VALU_DEP_1) | instskip(SKIP_1) | instid1(VALU_DEP_1)
	v_cmp_gt_i32_e32 vcc_lo, v6, v7
	v_dual_cndmask_b32 v6, v3, v18 :: v_dual_cndmask_b32 v7, v18, v3
	v_max_i32_e32 v3, v6, v7
	s_delay_alu instid0(VALU_DEP_1)
	v_cmp_gt_i32_e32 vcc_lo, s38, v3
	v_mov_b32_e32 v3, 0
	s_and_saveexec_b32 s6, vcc_lo
	s_cbranch_execz .LBB14_11
; %bb.10:                               ;   in Loop: Header=BB14_7 Depth=2
	v_ashrrev_i32_e32 v4, 31, v7
	v_mul_lo_u32 v5, v7, s23
	v_mad_u64_u32 v[2:3], null, v7, s22, 0
	v_ashrrev_i32_e32 v7, 31, v6
	s_delay_alu instid0(VALU_DEP_4) | instskip(NEXT) | instid1(VALU_DEP_1)
	v_mul_lo_u32 v4, v4, s22
	v_add3_u32 v3, v3, v5, v4
	s_delay_alu instid0(VALU_DEP_3) | instskip(NEXT) | instid1(VALU_DEP_2)
	v_lshlrev_b64 v[4:5], 3, v[6:7]
	v_lshlrev_b64 v[2:3], 3, v[2:3]
	s_delay_alu instid0(VALU_DEP_1) | instskip(NEXT) | instid1(VALU_DEP_2)
	v_add_co_u32 v2, vcc_lo, s18, v2
	v_add_co_ci_u32_e32 v3, vcc_lo, s19, v3, vcc_lo
	s_delay_alu instid0(VALU_DEP_2) | instskip(NEXT) | instid1(VALU_DEP_2)
	v_add_co_u32 v2, vcc_lo, v2, v4
	v_add_co_ci_u32_e32 v3, vcc_lo, v3, v5, vcc_lo
	global_load_b64 v[2:3], v[2:3], off
.LBB14_11:                              ;   in Loop: Header=BB14_7 Depth=2
	s_or_b32 exec_lo, exec_lo, s6
	s_waitcnt vmcnt(0)
	ds_store_b64 v15, v[2:3]
	s_waitcnt lgkmcnt(0)
	s_barrier
	buffer_gl0_inv
	s_and_saveexec_b32 s6, s2
	s_cbranch_execz .LBB14_6
; %bb.12:                               ;   in Loop: Header=BB14_7 Depth=2
	v_dual_mov_b32 v3, 0 :: v_dual_mov_b32 v2, v11
	v_mov_b32_e32 v4, 0
	s_mov_b32 s7, 0
.LBB14_13:                              ;   Parent Loop BB14_4 Depth=1
                                        ;     Parent Loop BB14_7 Depth=2
                                        ; =>    This Inner Loop Header: Depth=3
	s_delay_alu instid0(SALU_CYCLE_1)
	v_add_nc_u32_e32 v5, s7, v10
	ds_load_2addr_b64 v[19:22], v2 offset1:32
	ds_load_2addr_b64 v[23:26], v2 offset0:64 offset1:96
	ds_load_2addr_b64 v[27:30], v2 offset0:128 offset1:160
	;; [unrolled: 1-line block ×3, first 2 shown]
	ds_load_b128 v[35:38], v5
	ds_load_b128 v[39:42], v5 offset:16
	ds_load_b128 v[43:46], v5 offset:32
	;; [unrolled: 1-line block ×3, first 2 shown]
	v_add_nc_u32_e32 v2, 0x800, v2
	s_add_i32 s7, s7, 64
	s_delay_alu instid0(SALU_CYCLE_1)
	s_cmpk_eq_i32 s7, 0x100
	s_waitcnt lgkmcnt(3)
	v_mul_f32_e32 v6, v19, v36
	v_dual_mul_f32 v5, v20, v36 :: v_dual_mul_f32 v36, v21, v38
	s_waitcnt lgkmcnt(2)
	v_dual_mul_f32 v7, v22, v38 :: v_dual_mul_f32 v38, v24, v40
	v_dual_mul_f32 v40, v23, v40 :: v_dual_mul_f32 v51, v26, v42
	s_delay_alu instid0(VALU_DEP_3)
	v_fma_f32 v5, v19, v35, -v5
	v_mul_f32_e32 v42, v25, v42
	v_fmac_f32_e32 v6, v20, v35
	v_fma_f32 v7, v21, v37, -v7
	s_waitcnt lgkmcnt(1)
	v_dual_mul_f32 v52, v28, v44 :: v_dual_mul_f32 v19, v30, v46
	v_add_f32_e32 v3, v3, v5
	v_dual_mul_f32 v44, v27, v44 :: v_dual_mul_f32 v5, v29, v46
	v_fmac_f32_e32 v36, v22, v37
	v_add_f32_e32 v4, v4, v6
	v_fma_f32 v6, v23, v39, -v38
	v_add_f32_e32 v3, v3, v7
	v_dual_fmac_f32 v5, v30, v45 :: v_dual_fmac_f32 v40, v24, v39
	v_fma_f32 v20, v25, v41, -v51
	v_fma_f32 v21, v27, v43, -v52
	s_delay_alu instid0(VALU_DEP_4) | instskip(SKIP_3) | instid1(VALU_DEP_3)
	v_add_f32_e32 v3, v3, v6
	s_waitcnt lgkmcnt(0)
	v_dual_mul_f32 v7, v32, v48 :: v_dual_fmac_f32 v42, v26, v41
	v_fma_f32 v19, v29, v45, -v19
	v_add_f32_e32 v3, v3, v20
	v_add_f32_e32 v4, v4, v36
	s_delay_alu instid0(VALU_DEP_4) | instskip(NEXT) | instid1(VALU_DEP_2)
	v_fma_f32 v7, v31, v47, -v7
	v_dual_add_f32 v3, v3, v21 :: v_dual_add_f32 v4, v4, v40
	v_dual_mul_f32 v21, v33, v50 :: v_dual_mul_f32 v6, v31, v48
	s_delay_alu instid0(VALU_DEP_2) | instskip(SKIP_1) | instid1(VALU_DEP_3)
	v_dual_add_f32 v3, v3, v19 :: v_dual_add_f32 v4, v4, v42
	v_mul_f32_e32 v20, v34, v50
	v_dual_fmac_f32 v21, v34, v49 :: v_dual_fmac_f32 v6, v32, v47
	s_delay_alu instid0(VALU_DEP_3) | instskip(SKIP_1) | instid1(VALU_DEP_1)
	v_add_f32_e32 v3, v3, v7
	v_fmac_f32_e32 v44, v28, v43
	v_add_f32_e32 v4, v4, v44
	s_delay_alu instid0(VALU_DEP_1) | instskip(SKIP_1) | instid1(VALU_DEP_1)
	v_add_f32_e32 v4, v4, v5
	v_fma_f32 v5, v33, v49, -v20
	v_dual_add_f32 v4, v4, v6 :: v_dual_add_f32 v3, v3, v5
	s_delay_alu instid0(VALU_DEP_1)
	v_add_f32_e32 v4, v4, v21
	s_cbranch_scc0 .LBB14_13
; %bb.14:                               ;   in Loop: Header=BB14_7 Depth=2
	global_load_b64 v[5:6], v[0:1], off
	v_dual_mul_f32 v2, s17, v4 :: v_dual_mul_f32 v7, s17, v3
	s_delay_alu instid0(VALU_DEP_1) | instskip(SKIP_1) | instid1(VALU_DEP_1)
	v_fma_f32 v2, s16, v3, -v2
	s_waitcnt vmcnt(0)
	v_dual_fmac_f32 v7, s16, v4 :: v_dual_add_f32 v2, v2, v5
	s_delay_alu instid0(VALU_DEP_1)
	v_add_f32_e32 v3, v7, v6
	global_store_b64 v[0:1], v[2:3], off
	s_branch .LBB14_6
.LBB14_15:
	s_endpgm
	.section	.rodata,"a",@progbits
	.p2align	6, 0x0
	.amdhsa_kernel _ZL24rocblas_symm_hemm_kernelILb0ELb1ELi32EPK19rocblas_complex_numIfES3_PS1_EvbiiT2_T3_lllS6_lllT4_llli
		.amdhsa_group_segment_fixed_size 16384
		.amdhsa_private_segment_fixed_size 0
		.amdhsa_kernarg_size 384
		.amdhsa_user_sgpr_count 13
		.amdhsa_user_sgpr_dispatch_ptr 0
		.amdhsa_user_sgpr_queue_ptr 0
		.amdhsa_user_sgpr_kernarg_segment_ptr 1
		.amdhsa_user_sgpr_dispatch_id 0
		.amdhsa_user_sgpr_private_segment_size 0
		.amdhsa_wavefront_size32 1
		.amdhsa_uses_dynamic_stack 0
		.amdhsa_enable_private_segment 0
		.amdhsa_system_sgpr_workgroup_id_x 1
		.amdhsa_system_sgpr_workgroup_id_y 1
		.amdhsa_system_sgpr_workgroup_id_z 1
		.amdhsa_system_sgpr_workgroup_info 0
		.amdhsa_system_vgpr_workitem_id 1
		.amdhsa_next_free_vgpr 53
		.amdhsa_next_free_sgpr 40
		.amdhsa_reserve_vcc 1
		.amdhsa_float_round_mode_32 0
		.amdhsa_float_round_mode_16_64 0
		.amdhsa_float_denorm_mode_32 3
		.amdhsa_float_denorm_mode_16_64 3
		.amdhsa_dx10_clamp 1
		.amdhsa_ieee_mode 1
		.amdhsa_fp16_overflow 0
		.amdhsa_workgroup_processor_mode 1
		.amdhsa_memory_ordered 1
		.amdhsa_forward_progress 0
		.amdhsa_shared_vgpr_count 0
		.amdhsa_exception_fp_ieee_invalid_op 0
		.amdhsa_exception_fp_denorm_src 0
		.amdhsa_exception_fp_ieee_div_zero 0
		.amdhsa_exception_fp_ieee_overflow 0
		.amdhsa_exception_fp_ieee_underflow 0
		.amdhsa_exception_fp_ieee_inexact 0
		.amdhsa_exception_int_div_zero 0
	.end_amdhsa_kernel
	.section	.text._ZL24rocblas_symm_hemm_kernelILb0ELb1ELi32EPK19rocblas_complex_numIfES3_PS1_EvbiiT2_T3_lllS6_lllT4_llli,"axG",@progbits,_ZL24rocblas_symm_hemm_kernelILb0ELb1ELi32EPK19rocblas_complex_numIfES3_PS1_EvbiiT2_T3_lllS6_lllT4_llli,comdat
.Lfunc_end14:
	.size	_ZL24rocblas_symm_hemm_kernelILb0ELb1ELi32EPK19rocblas_complex_numIfES3_PS1_EvbiiT2_T3_lllS6_lllT4_llli, .Lfunc_end14-_ZL24rocblas_symm_hemm_kernelILb0ELb1ELi32EPK19rocblas_complex_numIfES3_PS1_EvbiiT2_T3_lllS6_lllT4_llli
                                        ; -- End function
	.section	.AMDGPU.csdata,"",@progbits
; Kernel info:
; codeLenInByte = 1300
; NumSgprs: 42
; NumVgprs: 53
; ScratchSize: 0
; MemoryBound: 0
; FloatMode: 240
; IeeeMode: 1
; LDSByteSize: 16384 bytes/workgroup (compile time only)
; SGPRBlocks: 5
; VGPRBlocks: 6
; NumSGPRsForWavesPerEU: 42
; NumVGPRsForWavesPerEU: 53
; Occupancy: 16
; WaveLimiterHint : 0
; COMPUTE_PGM_RSRC2:SCRATCH_EN: 0
; COMPUTE_PGM_RSRC2:USER_SGPR: 13
; COMPUTE_PGM_RSRC2:TRAP_HANDLER: 0
; COMPUTE_PGM_RSRC2:TGID_X_EN: 1
; COMPUTE_PGM_RSRC2:TGID_Y_EN: 1
; COMPUTE_PGM_RSRC2:TGID_Z_EN: 1
; COMPUTE_PGM_RSRC2:TIDIG_COMP_CNT: 1
	.section	.text._ZL25rocblas_symm_scale_kernelILi128ELi8E19rocblas_complex_numIfEPS1_EviiT1_T2_llli,"axG",@progbits,_ZL25rocblas_symm_scale_kernelILi128ELi8E19rocblas_complex_numIfEPS1_EviiT1_T2_llli,comdat
	.globl	_ZL25rocblas_symm_scale_kernelILi128ELi8E19rocblas_complex_numIfEPS1_EviiT1_T2_llli ; -- Begin function _ZL25rocblas_symm_scale_kernelILi128ELi8E19rocblas_complex_numIfEPS1_EviiT1_T2_llli
	.p2align	8
	.type	_ZL25rocblas_symm_scale_kernelILi128ELi8E19rocblas_complex_numIfEPS1_EviiT1_T2_llli,@function
_ZL25rocblas_symm_scale_kernelILi128ELi8E19rocblas_complex_numIfEPS1_EviiT1_T2_llli: ; @_ZL25rocblas_symm_scale_kernelILi128ELi8E19rocblas_complex_numIfEPS1_EviiT1_T2_llli
; %bb.0:
	s_load_b128 s[16:19], s[0:1], 0x0
	s_waitcnt lgkmcnt(0)
	v_cmp_eq_f32_e64 s2, s18, 1.0
	v_cmp_eq_f32_e64 s3, s19, 0
	s_delay_alu instid0(VALU_DEP_1) | instskip(NEXT) | instid1(SALU_CYCLE_1)
	s_and_b32 s2, s2, s3
	s_and_b32 vcc_lo, exec_lo, s2
	s_cbranch_vccnz .LBB15_6
; %bb.1:
	v_bfe_u32 v1, v0, 10, 10
	v_and_b32_e32 v2, 0x3ff, v0
	s_mov_b32 s12, s17
	s_delay_alu instid0(VALU_DEP_2) | instskip(SKIP_1) | instid1(VALU_DEP_3)
	v_lshl_add_u32 v0, s14, 3, v1
	v_mov_b32_e32 v1, 0
	v_lshl_add_u32 v2, s13, 7, v2
	s_ashr_i32 s13, s17, 31
	s_delay_alu instid0(VALU_DEP_2) | instid1(SALU_CYCLE_1)
	v_cmp_gt_i64_e32 vcc_lo, s[12:13], v[0:1]
	s_delay_alu instid0(VALU_DEP_2) | instskip(NEXT) | instid1(VALU_DEP_1)
	v_cmp_gt_u32_e64 s2, s16, v2
	s_and_b32 s2, s2, vcc_lo
	s_delay_alu instid0(SALU_CYCLE_1)
	s_and_saveexec_b32 s3, s2
	s_cbranch_execz .LBB15_6
; %bb.2:
	s_clause 0x1
	s_load_b256 s[4:11], s[0:1], 0x10
	s_load_b32 s0, s[0:1], 0x3c
	s_or_b32 s1, s18, s19
	v_mov_b32_e32 v3, v1
	s_bitset0_b32 s1, 31
	s_delay_alu instid0(SALU_CYCLE_1) | instskip(SKIP_1) | instid1(VALU_DEP_1)
	s_cmp_lg_u32 s1, 0
	s_cselect_b32 s1, -1, 0
	v_lshlrev_b64 v[2:3], 3, v[2:3]
	s_waitcnt lgkmcnt(0)
	v_mad_u64_u32 v[4:5], null, s8, v0, 0
	s_mul_i32 s3, s11, s15
	s_mul_hi_u32 s14, s10, s15
	s_mul_i32 s2, s10, s15
	s_add_i32 s3, s14, s3
	s_lshl_b64 s[10:11], s[6:7], 3
	s_lshl_b64 s[2:3], s[2:3], 3
	s_delay_alu instid0(VALU_DEP_1) | instskip(SKIP_3) | instid1(VALU_DEP_1)
	v_mad_u64_u32 v[6:7], null, s9, v0, v[5:6]
	s_lshl_b32 s6, s0, 3
	s_add_u32 s0, s10, s2
	s_addc_u32 s2, s11, s3
	v_mov_b32_e32 v5, v6
	s_delay_alu instid0(VALU_DEP_1) | instskip(NEXT) | instid1(VALU_DEP_1)
	v_lshlrev_b64 v[4:5], 3, v[4:5]
	v_add_co_u32 v4, vcc_lo, s0, v4
	s_delay_alu instid0(VALU_DEP_2) | instskip(SKIP_1) | instid1(VALU_DEP_2)
	v_add_co_ci_u32_e32 v5, vcc_lo, s2, v5, vcc_lo
	s_mul_i32 s0, s9, s6
	v_add_co_u32 v2, vcc_lo, v4, v2
	s_delay_alu instid0(VALU_DEP_2) | instskip(SKIP_1) | instid1(VALU_DEP_2)
	v_add_co_ci_u32_e32 v3, vcc_lo, v5, v3, vcc_lo
	s_mul_hi_u32 s2, s8, s6
	v_add_co_u32 v2, vcc_lo, v2, s4
	s_delay_alu instid0(VALU_DEP_2) | instskip(SKIP_1) | instid1(VALU_DEP_2)
	v_add_co_ci_u32_e32 v3, vcc_lo, s5, v3, vcc_lo
	s_add_i32 s3, s2, s0
	v_add_co_u32 v2, vcc_lo, v2, 4
	s_delay_alu instid0(VALU_DEP_2)
	v_add_co_ci_u32_e32 v3, vcc_lo, 0, v3, vcc_lo
	s_mul_i32 s2, s8, s6
	s_mov_b32 s4, 0
	s_lshl_b64 s[2:3], s[2:3], 3
	s_set_inst_prefetch_distance 0x1
	s_branch .LBB15_4
	.p2align	6
.LBB15_3:                               ;   in Loop: Header=BB15_4 Depth=1
	v_add_co_u32 v0, vcc_lo, v0, s6
	v_add_co_ci_u32_e32 v1, vcc_lo, 0, v1, vcc_lo
	global_store_b64 v[2:3], v[4:5], off offset:-4
	v_add_co_u32 v2, s0, v2, s2
	v_cmp_le_i64_e32 vcc_lo, s[12:13], v[0:1]
	v_add_co_ci_u32_e64 v3, s0, s3, v3, s0
	s_or_b32 s4, vcc_lo, s4
	s_delay_alu instid0(SALU_CYCLE_1)
	s_and_not1_b32 exec_lo, exec_lo, s4
	s_cbranch_execz .LBB15_6
.LBB15_4:                               ; =>This Inner Loop Header: Depth=1
	v_dual_mov_b32 v5, 0 :: v_dual_mov_b32 v4, 0
	s_and_not1_b32 vcc_lo, exec_lo, s1
	s_cbranch_vccnz .LBB15_3
; %bb.5:                                ;   in Loop: Header=BB15_4 Depth=1
	global_load_b64 v[6:7], v[2:3], off offset:-4
	s_waitcnt vmcnt(0)
	v_mul_f32_e32 v5, s18, v7
	s_delay_alu instid0(VALU_DEP_1) | instskip(NEXT) | instid1(VALU_DEP_1)
	v_dual_mul_f32 v4, s19, v7 :: v_dual_fmac_f32 v5, s19, v6
	v_fma_f32 v4, v6, s18, -v4
	s_branch .LBB15_3
.LBB15_6:
	s_set_inst_prefetch_distance 0x2
	s_nop 0
	s_sendmsg sendmsg(MSG_DEALLOC_VGPRS)
	s_endpgm
	.section	.rodata,"a",@progbits
	.p2align	6, 0x0
	.amdhsa_kernel _ZL25rocblas_symm_scale_kernelILi128ELi8E19rocblas_complex_numIfEPS1_EviiT1_T2_llli
		.amdhsa_group_segment_fixed_size 0
		.amdhsa_private_segment_fixed_size 0
		.amdhsa_kernarg_size 312
		.amdhsa_user_sgpr_count 13
		.amdhsa_user_sgpr_dispatch_ptr 0
		.amdhsa_user_sgpr_queue_ptr 0
		.amdhsa_user_sgpr_kernarg_segment_ptr 1
		.amdhsa_user_sgpr_dispatch_id 0
		.amdhsa_user_sgpr_private_segment_size 0
		.amdhsa_wavefront_size32 1
		.amdhsa_uses_dynamic_stack 0
		.amdhsa_enable_private_segment 0
		.amdhsa_system_sgpr_workgroup_id_x 1
		.amdhsa_system_sgpr_workgroup_id_y 1
		.amdhsa_system_sgpr_workgroup_id_z 1
		.amdhsa_system_sgpr_workgroup_info 0
		.amdhsa_system_vgpr_workitem_id 1
		.amdhsa_next_free_vgpr 8
		.amdhsa_next_free_sgpr 20
		.amdhsa_reserve_vcc 1
		.amdhsa_float_round_mode_32 0
		.amdhsa_float_round_mode_16_64 0
		.amdhsa_float_denorm_mode_32 3
		.amdhsa_float_denorm_mode_16_64 3
		.amdhsa_dx10_clamp 1
		.amdhsa_ieee_mode 1
		.amdhsa_fp16_overflow 0
		.amdhsa_workgroup_processor_mode 1
		.amdhsa_memory_ordered 1
		.amdhsa_forward_progress 0
		.amdhsa_shared_vgpr_count 0
		.amdhsa_exception_fp_ieee_invalid_op 0
		.amdhsa_exception_fp_denorm_src 0
		.amdhsa_exception_fp_ieee_div_zero 0
		.amdhsa_exception_fp_ieee_overflow 0
		.amdhsa_exception_fp_ieee_underflow 0
		.amdhsa_exception_fp_ieee_inexact 0
		.amdhsa_exception_int_div_zero 0
	.end_amdhsa_kernel
	.section	.text._ZL25rocblas_symm_scale_kernelILi128ELi8E19rocblas_complex_numIfEPS1_EviiT1_T2_llli,"axG",@progbits,_ZL25rocblas_symm_scale_kernelILi128ELi8E19rocblas_complex_numIfEPS1_EviiT1_T2_llli,comdat
.Lfunc_end15:
	.size	_ZL25rocblas_symm_scale_kernelILi128ELi8E19rocblas_complex_numIfEPS1_EviiT1_T2_llli, .Lfunc_end15-_ZL25rocblas_symm_scale_kernelILi128ELi8E19rocblas_complex_numIfEPS1_EviiT1_T2_llli
                                        ; -- End function
	.section	.AMDGPU.csdata,"",@progbits
; Kernel info:
; codeLenInByte = 480
; NumSgprs: 22
; NumVgprs: 8
; ScratchSize: 0
; MemoryBound: 0
; FloatMode: 240
; IeeeMode: 1
; LDSByteSize: 0 bytes/workgroup (compile time only)
; SGPRBlocks: 2
; VGPRBlocks: 0
; NumSGPRsForWavesPerEU: 22
; NumVGPRsForWavesPerEU: 8
; Occupancy: 16
; WaveLimiterHint : 0
; COMPUTE_PGM_RSRC2:SCRATCH_EN: 0
; COMPUTE_PGM_RSRC2:USER_SGPR: 13
; COMPUTE_PGM_RSRC2:TRAP_HANDLER: 0
; COMPUTE_PGM_RSRC2:TGID_X_EN: 1
; COMPUTE_PGM_RSRC2:TGID_Y_EN: 1
; COMPUTE_PGM_RSRC2:TGID_Z_EN: 1
; COMPUTE_PGM_RSRC2:TIDIG_COMP_CNT: 1
	.section	.text._ZL24rocblas_symm_hemm_kernelILb0ELb0ELi32E19rocblas_complex_numIfEPKS1_PS1_EvbiiT2_T3_lllS6_lllT4_llli,"axG",@progbits,_ZL24rocblas_symm_hemm_kernelILb0ELb0ELi32E19rocblas_complex_numIfEPKS1_PS1_EvbiiT2_T3_lllS6_lllT4_llli,comdat
	.globl	_ZL24rocblas_symm_hemm_kernelILb0ELb0ELi32E19rocblas_complex_numIfEPKS1_PS1_EvbiiT2_T3_lllS6_lllT4_llli ; -- Begin function _ZL24rocblas_symm_hemm_kernelILb0ELb0ELi32E19rocblas_complex_numIfEPKS1_PS1_EvbiiT2_T3_lllS6_lllT4_llli
	.p2align	8
	.type	_ZL24rocblas_symm_hemm_kernelILb0ELb0ELi32E19rocblas_complex_numIfEPKS1_PS1_EvbiiT2_T3_lllS6_lllT4_llli,@function
_ZL24rocblas_symm_hemm_kernelILb0ELb0ELi32E19rocblas_complex_numIfEPKS1_PS1_EvbiiT2_T3_lllS6_lllT4_llli: ; @_ZL24rocblas_symm_hemm_kernelILb0ELb0ELi32E19rocblas_complex_numIfEPKS1_PS1_EvbiiT2_T3_lllS6_lllT4_llli
; %bb.0:
	s_clause 0x1
	s_load_b128 s[36:39], s[0:1], 0x0
	s_load_b32 s3, s[0:1], 0x10
	s_waitcnt lgkmcnt(0)
	v_cmp_eq_f32_e64 s2, s39, 0
	v_cmp_eq_f32_e64 s4, s3, 0
	s_delay_alu instid0(VALU_DEP_1) | instskip(NEXT) | instid1(SALU_CYCLE_1)
	s_and_b32 s2, s2, s4
	s_and_b32 vcc_lo, exec_lo, s2
	s_cbranch_vccnz .LBB16_15
; %bb.1:
	s_add_i32 s2, s38, -1
	s_delay_alu instid0(SALU_CYCLE_1) | instskip(NEXT) | instid1(SALU_CYCLE_1)
	s_ashr_i32 s4, s2, 31
	s_lshr_b32 s4, s4, 27
	s_delay_alu instid0(SALU_CYCLE_1) | instskip(NEXT) | instid1(SALU_CYCLE_1)
	s_add_i32 s2, s2, s4
	s_ashr_i32 s12, s2, 5
	s_delay_alu instid0(SALU_CYCLE_1)
	s_cmp_gt_i32 s14, s12
	s_cbranch_scc1 .LBB16_15
; %bb.2:
	s_clause 0x2
	s_load_b512 s[16:31], s[0:1], 0x18
	s_load_b256 s[4:11], s[0:1], 0x58
	s_load_b32 s33, s[0:1], 0x84
	v_and_b32_e32 v10, 0x3ff, v0
	v_bfe_u32 v9, v0, 10, 10
	s_delay_alu instid0(VALU_DEP_2) | instskip(NEXT) | instid1(VALU_DEP_2)
	v_lshl_add_u32 v0, s13, 5, v10
	v_lshlrev_b32_e32 v1, 3, v9
	v_lshlrev_b32_e32 v11, 8, v10
	s_delay_alu instid0(VALU_DEP_2) | instskip(NEXT) | instid1(VALU_DEP_2)
	v_or_b32_e32 v13, 0x2000, v1
	v_add_nc_u32_e32 v12, v11, v1
	v_ashrrev_i32_e32 v1, 31, v0
	s_delay_alu instid0(VALU_DEP_3) | instskip(NEXT) | instid1(VALU_DEP_2)
	v_add_nc_u32_e32 v14, v13, v11
	v_lshlrev_b64 v[1:2], 3, v[0:1]
	s_waitcnt lgkmcnt(0)
	s_mul_i32 s1, s15, s23
	s_mul_hi_u32 s2, s15, s22
	s_mul_i32 s0, s15, s22
	s_add_i32 s1, s2, s1
	s_mul_i32 s2, s15, s31
	s_lshl_b64 s[0:1], s[0:1], 3
	s_mul_hi_u32 s22, s15, s30
	s_add_u32 s13, s16, s0
	s_addc_u32 s16, s17, s1
	s_lshl_b64 s[0:1], s[18:19], 3
	s_mul_i32 s18, s15, s30
	s_add_u32 s13, s13, s0
	s_addc_u32 s16, s16, s1
	s_add_i32 s19, s22, s2
	s_mul_i32 s2, s15, s11
	s_lshl_b64 s[0:1], s[18:19], 3
	s_mul_hi_u32 s19, s15, s10
	s_add_u32 s11, s24, s0
	s_addc_u32 s17, s25, s1
	s_lshl_b64 s[0:1], s[26:27], 3
	s_mul_i32 s18, s15, s10
	s_add_u32 s11, s11, s0
	s_addc_u32 s17, s17, s1
	s_bitcmp1_b32 s36, 0
	v_cmp_gt_i32_e64 s1, s37, v0
	s_cselect_b32 s0, -1, 0
	s_add_i32 s19, s19, s2
	s_delay_alu instid0(SALU_CYCLE_1) | instskip(NEXT) | instid1(SALU_CYCLE_1)
	s_lshl_b64 s[18:19], s[18:19], 3
	s_add_u32 s2, s4, s18
	s_addc_u32 s10, s5, s19
	s_lshl_b64 s[4:5], s[6:7], 3
	s_delay_alu instid0(SALU_CYCLE_1)
	s_add_u32 s2, s2, s4
	s_addc_u32 s4, s10, s5
	v_add_co_u32 v15, vcc_lo, s2, v1
	v_add_co_ci_u32_e32 v16, vcc_lo, s4, v2, vcc_lo
	s_cmp_gt_i32 s37, 0
	s_cselect_b32 s4, -1, 0
	s_branch .LBB16_4
.LBB16_3:                               ;   in Loop: Header=BB16_4 Depth=1
	s_add_i32 s14, s14, s33
	s_delay_alu instid0(SALU_CYCLE_1)
	s_cmp_gt_i32 s14, s12
	s_cbranch_scc1 .LBB16_15
.LBB16_4:                               ; =>This Loop Header: Depth=1
                                        ;     Child Loop BB16_7 Depth 2
                                        ;       Child Loop BB16_13 Depth 3
	s_and_not1_b32 vcc_lo, exec_lo, s4
	s_cbranch_vccnz .LBB16_3
; %bb.5:                                ;   in Loop: Header=BB16_4 Depth=1
	v_lshl_add_u32 v5, s14, 5, v9
	s_mov_b32 s6, 0
	s_delay_alu instid0(VALU_DEP_1) | instskip(SKIP_3) | instid1(VALU_DEP_4)
	v_ashrrev_i32_e32 v6, 31, v5
	v_mul_lo_u32 v7, v5, s29
	v_mad_u64_u32 v[1:2], null, v5, s28, 0
	v_mul_lo_u32 v17, v5, s9
	v_mul_lo_u32 v8, v6, s28
	v_mad_u64_u32 v[3:4], null, v5, s8, 0
	v_mul_lo_u32 v6, v6, s8
	v_cmp_gt_i32_e32 vcc_lo, s38, v5
	s_delay_alu instid0(VALU_DEP_4) | instskip(SKIP_1) | instid1(VALU_DEP_3)
	v_add3_u32 v2, v2, v7, v8
	s_and_b32 s5, s1, vcc_lo
	v_add3_u32 v4, v4, v17, v6
	s_delay_alu instid0(VALU_DEP_2) | instskip(NEXT) | instid1(VALU_DEP_2)
	v_lshlrev_b64 v[1:2], 3, v[1:2]
	v_lshlrev_b64 v[3:4], 3, v[3:4]
	s_delay_alu instid0(VALU_DEP_2) | instskip(NEXT) | instid1(VALU_DEP_1)
	v_add_co_u32 v17, s2, s11, v1
	v_add_co_ci_u32_e64 v18, s2, s17, v2, s2
	s_delay_alu instid0(VALU_DEP_3) | instskip(NEXT) | instid1(VALU_DEP_1)
	v_add_co_u32 v1, s2, v15, v3
	v_add_co_ci_u32_e64 v2, s2, v16, v4, s2
	s_branch .LBB16_7
.LBB16_6:                               ;   in Loop: Header=BB16_7 Depth=2
	s_or_b32 exec_lo, exec_lo, s2
	s_add_i32 s6, s6, 32
	s_waitcnt_vscnt null, 0x0
	s_cmp_ge_i32 s6, s37
	s_barrier
	buffer_gl0_inv
	s_cbranch_scc1 .LBB16_3
.LBB16_7:                               ;   Parent Loop BB16_4 Depth=1
                                        ; =>  This Loop Header: Depth=2
                                        ;       Child Loop BB16_13 Depth 3
	v_add_nc_u32_e32 v3, s6, v9
	s_delay_alu instid0(VALU_DEP_1) | instskip(SKIP_1) | instid1(VALU_DEP_1)
	v_cndmask_b32_e64 v4, v3, v0, s0
	v_cndmask_b32_e64 v5, v0, v3, s0
	v_cmp_gt_i32_e64 s2, v4, v5
	v_mov_b32_e32 v5, 0
	s_delay_alu instid0(VALU_DEP_2) | instskip(SKIP_2) | instid1(VALU_DEP_2)
	v_cndmask_b32_e64 v4, v0, v3, s2
	v_cndmask_b32_e64 v7, v3, v0, s2
	v_mov_b32_e32 v3, 0
	v_max_i32_e32 v6, v4, v7
	s_delay_alu instid0(VALU_DEP_1) | instskip(SKIP_1) | instid1(VALU_DEP_2)
	v_cmp_gt_i32_e64 s2, s37, v6
	v_mov_b32_e32 v6, 0
	s_and_saveexec_b32 s7, s2
	s_cbranch_execz .LBB16_9
; %bb.8:                                ;   in Loop: Header=BB16_7 Depth=2
	v_ashrrev_i32_e32 v5, 31, v7
	v_mul_lo_u32 v6, v7, s21
	v_mad_u64_u32 v[19:20], null, v7, s20, 0
	s_delay_alu instid0(VALU_DEP_3) | instskip(NEXT) | instid1(VALU_DEP_1)
	v_mul_lo_u32 v5, v5, s20
	v_add3_u32 v20, v20, v6, v5
	v_ashrrev_i32_e32 v5, 31, v4
	s_delay_alu instid0(VALU_DEP_2) | instskip(NEXT) | instid1(VALU_DEP_2)
	v_lshlrev_b64 v[6:7], 3, v[19:20]
	v_lshlrev_b64 v[4:5], 3, v[4:5]
	s_delay_alu instid0(VALU_DEP_2) | instskip(NEXT) | instid1(VALU_DEP_1)
	v_add_co_u32 v6, s2, s13, v6
	v_add_co_ci_u32_e64 v7, s2, s16, v7, s2
	s_delay_alu instid0(VALU_DEP_2) | instskip(NEXT) | instid1(VALU_DEP_1)
	v_add_co_u32 v4, s2, v6, v4
	v_add_co_ci_u32_e64 v5, s2, v7, v5, s2
	global_load_b64 v[5:6], v[4:5], off
.LBB16_9:                               ;   in Loop: Header=BB16_7 Depth=2
	s_or_b32 exec_lo, exec_lo, s7
	v_dual_mov_b32 v4, 0 :: v_dual_add_nc_u32 v7, s6, v10
	s_waitcnt vmcnt(0)
	ds_store_b64 v12, v[5:6]
	v_cmp_gt_i32_e64 s2, s37, v7
	s_delay_alu instid0(VALU_DEP_1) | instskip(NEXT) | instid1(SALU_CYCLE_1)
	s_and_b32 s2, s2, vcc_lo
	s_and_saveexec_b32 s7, s2
	s_cbranch_execz .LBB16_11
; %bb.10:                               ;   in Loop: Header=BB16_7 Depth=2
	v_ashrrev_i32_e32 v8, 31, v7
	s_delay_alu instid0(VALU_DEP_1) | instskip(NEXT) | instid1(VALU_DEP_1)
	v_lshlrev_b64 v[3:4], 3, v[7:8]
	v_add_co_u32 v3, s2, v17, v3
	s_delay_alu instid0(VALU_DEP_1)
	v_add_co_ci_u32_e64 v4, s2, v18, v4, s2
	global_load_b64 v[3:4], v[3:4], off
.LBB16_11:                              ;   in Loop: Header=BB16_7 Depth=2
	s_or_b32 exec_lo, exec_lo, s7
	s_waitcnt vmcnt(0)
	ds_store_b64 v14, v[3:4]
	s_waitcnt lgkmcnt(0)
	s_barrier
	buffer_gl0_inv
	s_and_saveexec_b32 s2, s5
	s_cbranch_execz .LBB16_6
; %bb.12:                               ;   in Loop: Header=BB16_7 Depth=2
	v_dual_mov_b32 v4, 0 :: v_dual_mov_b32 v3, v13
	v_mov_b32_e32 v5, 0
	s_mov_b32 s7, 0
.LBB16_13:                              ;   Parent Loop BB16_4 Depth=1
                                        ;     Parent Loop BB16_7 Depth=2
                                        ; =>    This Inner Loop Header: Depth=3
	s_delay_alu instid0(SALU_CYCLE_1)
	v_add_nc_u32_e32 v6, s7, v11
	ds_load_2addr_b64 v[19:22], v3 offset1:32
	ds_load_2addr_b64 v[23:26], v3 offset0:64 offset1:96
	ds_load_2addr_b64 v[27:30], v3 offset0:128 offset1:160
	;; [unrolled: 1-line block ×3, first 2 shown]
	ds_load_b128 v[35:38], v6
	ds_load_b128 v[39:42], v6 offset:16
	ds_load_b128 v[43:46], v6 offset:32
	ds_load_b128 v[47:50], v6 offset:48
	s_add_i32 s7, s7, 64
	v_add_nc_u32_e32 v3, 0x800, v3
	s_cmpk_eq_i32 s7, 0x100
	s_waitcnt lgkmcnt(3)
	v_mul_f32_e32 v7, v19, v36
	s_waitcnt lgkmcnt(2)
	v_dual_mul_f32 v6, v20, v36 :: v_dual_mul_f32 v51, v26, v42
	v_mul_f32_e32 v8, v22, v38
	s_delay_alu instid0(VALU_DEP_3) | instskip(NEXT) | instid1(VALU_DEP_3)
	v_dual_mul_f32 v36, v21, v38 :: v_dual_fmac_f32 v7, v20, v35
	v_fma_f32 v6, v19, v35, -v6
	s_waitcnt lgkmcnt(1)
	v_dual_mul_f32 v38, v24, v40 :: v_dual_mul_f32 v19, v30, v46
	s_delay_alu instid0(VALU_DEP_3) | instskip(SKIP_2) | instid1(VALU_DEP_4)
	v_dual_mul_f32 v40, v23, v40 :: v_dual_add_f32 v5, v5, v7
	v_fma_f32 v8, v21, v37, -v8
	v_add_f32_e32 v4, v4, v6
	v_fma_f32 v7, v23, v39, -v38
	s_delay_alu instid0(VALU_DEP_4) | instskip(SKIP_4) | instid1(VALU_DEP_1)
	v_fmac_f32_e32 v40, v24, v39
	v_fma_f32 v20, v25, v41, -v51
	v_fma_f32 v19, v29, v45, -v19
	v_add_f32_e32 v4, v4, v8
	s_waitcnt lgkmcnt(0)
	v_dual_add_f32 v4, v4, v7 :: v_dual_mul_f32 v7, v31, v48
	v_fmac_f32_e32 v36, v22, v37
	v_mul_f32_e32 v42, v25, v42
	s_delay_alu instid0(VALU_DEP_3) | instskip(NEXT) | instid1(VALU_DEP_4)
	v_add_f32_e32 v4, v4, v20
	v_fmac_f32_e32 v7, v32, v47
	s_delay_alu instid0(VALU_DEP_3) | instskip(NEXT) | instid1(VALU_DEP_1)
	v_dual_add_f32 v5, v5, v36 :: v_dual_fmac_f32 v42, v26, v41
	v_dual_mul_f32 v20, v34, v50 :: v_dual_add_f32 v5, v5, v40
	v_mul_f32_e32 v52, v28, v44
	s_delay_alu instid0(VALU_DEP_2) | instskip(NEXT) | instid1(VALU_DEP_2)
	v_dual_mul_f32 v44, v27, v44 :: v_dual_add_f32 v5, v5, v42
	v_fma_f32 v21, v27, v43, -v52
	s_delay_alu instid0(VALU_DEP_1) | instskip(SKIP_1) | instid1(VALU_DEP_4)
	v_dual_add_f32 v4, v4, v21 :: v_dual_mul_f32 v21, v33, v50
	v_mul_f32_e32 v6, v29, v46
	v_fmac_f32_e32 v44, v28, v43
	s_delay_alu instid0(VALU_DEP_3) | instskip(NEXT) | instid1(VALU_DEP_2)
	v_dual_add_f32 v4, v4, v19 :: v_dual_fmac_f32 v21, v34, v49
	v_dual_fmac_f32 v6, v30, v45 :: v_dual_add_f32 v5, v5, v44
	s_delay_alu instid0(VALU_DEP_1) | instskip(SKIP_1) | instid1(VALU_DEP_2)
	v_dual_add_f32 v5, v5, v6 :: v_dual_mul_f32 v8, v32, v48
	v_fma_f32 v6, v33, v49, -v20
	v_add_f32_e32 v5, v5, v7
	s_delay_alu instid0(VALU_DEP_3) | instskip(NEXT) | instid1(VALU_DEP_1)
	v_fma_f32 v8, v31, v47, -v8
	v_dual_add_f32 v5, v5, v21 :: v_dual_add_f32 v4, v4, v8
	s_delay_alu instid0(VALU_DEP_1)
	v_add_f32_e32 v4, v4, v6
	s_cbranch_scc0 .LBB16_13
; %bb.14:                               ;   in Loop: Header=BB16_7 Depth=2
	global_load_b64 v[6:7], v[1:2], off
	v_dual_mul_f32 v3, s3, v5 :: v_dual_mul_f32 v8, s3, v4
	s_delay_alu instid0(VALU_DEP_1) | instskip(SKIP_1) | instid1(VALU_DEP_1)
	v_fma_f32 v3, s39, v4, -v3
	s_waitcnt vmcnt(0)
	v_dual_fmac_f32 v8, s39, v5 :: v_dual_add_f32 v3, v3, v6
	s_delay_alu instid0(VALU_DEP_1)
	v_add_f32_e32 v4, v8, v7
	global_store_b64 v[1:2], v[3:4], off
	s_branch .LBB16_6
.LBB16_15:
	s_endpgm
	.section	.rodata,"a",@progbits
	.p2align	6, 0x0
	.amdhsa_kernel _ZL24rocblas_symm_hemm_kernelILb0ELb0ELi32E19rocblas_complex_numIfEPKS1_PS1_EvbiiT2_T3_lllS6_lllT4_llli
		.amdhsa_group_segment_fixed_size 16384
		.amdhsa_private_segment_fixed_size 0
		.amdhsa_kernarg_size 384
		.amdhsa_user_sgpr_count 13
		.amdhsa_user_sgpr_dispatch_ptr 0
		.amdhsa_user_sgpr_queue_ptr 0
		.amdhsa_user_sgpr_kernarg_segment_ptr 1
		.amdhsa_user_sgpr_dispatch_id 0
		.amdhsa_user_sgpr_private_segment_size 0
		.amdhsa_wavefront_size32 1
		.amdhsa_uses_dynamic_stack 0
		.amdhsa_enable_private_segment 0
		.amdhsa_system_sgpr_workgroup_id_x 1
		.amdhsa_system_sgpr_workgroup_id_y 1
		.amdhsa_system_sgpr_workgroup_id_z 1
		.amdhsa_system_sgpr_workgroup_info 0
		.amdhsa_system_vgpr_workitem_id 1
		.amdhsa_next_free_vgpr 53
		.amdhsa_next_free_sgpr 40
		.amdhsa_reserve_vcc 1
		.amdhsa_float_round_mode_32 0
		.amdhsa_float_round_mode_16_64 0
		.amdhsa_float_denorm_mode_32 3
		.amdhsa_float_denorm_mode_16_64 3
		.amdhsa_dx10_clamp 1
		.amdhsa_ieee_mode 1
		.amdhsa_fp16_overflow 0
		.amdhsa_workgroup_processor_mode 1
		.amdhsa_memory_ordered 1
		.amdhsa_forward_progress 0
		.amdhsa_shared_vgpr_count 0
		.amdhsa_exception_fp_ieee_invalid_op 0
		.amdhsa_exception_fp_denorm_src 0
		.amdhsa_exception_fp_ieee_div_zero 0
		.amdhsa_exception_fp_ieee_overflow 0
		.amdhsa_exception_fp_ieee_underflow 0
		.amdhsa_exception_fp_ieee_inexact 0
		.amdhsa_exception_int_div_zero 0
	.end_amdhsa_kernel
	.section	.text._ZL24rocblas_symm_hemm_kernelILb0ELb0ELi32E19rocblas_complex_numIfEPKS1_PS1_EvbiiT2_T3_lllS6_lllT4_llli,"axG",@progbits,_ZL24rocblas_symm_hemm_kernelILb0ELb0ELi32E19rocblas_complex_numIfEPKS1_PS1_EvbiiT2_T3_lllS6_lllT4_llli,comdat
.Lfunc_end16:
	.size	_ZL24rocblas_symm_hemm_kernelILb0ELb0ELi32E19rocblas_complex_numIfEPKS1_PS1_EvbiiT2_T3_lllS6_lllT4_llli, .Lfunc_end16-_ZL24rocblas_symm_hemm_kernelILb0ELb0ELi32E19rocblas_complex_numIfEPKS1_PS1_EvbiiT2_T3_lllS6_lllT4_llli
                                        ; -- End function
	.section	.AMDGPU.csdata,"",@progbits
; Kernel info:
; codeLenInByte = 1372
; NumSgprs: 42
; NumVgprs: 53
; ScratchSize: 0
; MemoryBound: 0
; FloatMode: 240
; IeeeMode: 1
; LDSByteSize: 16384 bytes/workgroup (compile time only)
; SGPRBlocks: 5
; VGPRBlocks: 6
; NumSGPRsForWavesPerEU: 42
; NumVGPRsForWavesPerEU: 53
; Occupancy: 16
; WaveLimiterHint : 0
; COMPUTE_PGM_RSRC2:SCRATCH_EN: 0
; COMPUTE_PGM_RSRC2:USER_SGPR: 13
; COMPUTE_PGM_RSRC2:TRAP_HANDLER: 0
; COMPUTE_PGM_RSRC2:TGID_X_EN: 1
; COMPUTE_PGM_RSRC2:TGID_Y_EN: 1
; COMPUTE_PGM_RSRC2:TGID_Z_EN: 1
; COMPUTE_PGM_RSRC2:TIDIG_COMP_CNT: 1
	.section	.text._ZL24rocblas_symm_hemm_kernelILb0ELb1ELi32E19rocblas_complex_numIfEPKS1_PS1_EvbiiT2_T3_lllS6_lllT4_llli,"axG",@progbits,_ZL24rocblas_symm_hemm_kernelILb0ELb1ELi32E19rocblas_complex_numIfEPKS1_PS1_EvbiiT2_T3_lllS6_lllT4_llli,comdat
	.globl	_ZL24rocblas_symm_hemm_kernelILb0ELb1ELi32E19rocblas_complex_numIfEPKS1_PS1_EvbiiT2_T3_lllS6_lllT4_llli ; -- Begin function _ZL24rocblas_symm_hemm_kernelILb0ELb1ELi32E19rocblas_complex_numIfEPKS1_PS1_EvbiiT2_T3_lllS6_lllT4_llli
	.p2align	8
	.type	_ZL24rocblas_symm_hemm_kernelILb0ELb1ELi32E19rocblas_complex_numIfEPKS1_PS1_EvbiiT2_T3_lllS6_lllT4_llli,@function
_ZL24rocblas_symm_hemm_kernelILb0ELb1ELi32E19rocblas_complex_numIfEPKS1_PS1_EvbiiT2_T3_lllS6_lllT4_llli: ; @_ZL24rocblas_symm_hemm_kernelILb0ELb1ELi32E19rocblas_complex_numIfEPKS1_PS1_EvbiiT2_T3_lllS6_lllT4_llli
; %bb.0:
	s_clause 0x1
	s_load_b128 s[36:39], s[0:1], 0x0
	s_load_b32 s3, s[0:1], 0x10
	s_waitcnt lgkmcnt(0)
	v_cmp_eq_f32_e64 s2, s39, 0
	v_cmp_eq_f32_e64 s4, s3, 0
	s_delay_alu instid0(VALU_DEP_1) | instskip(NEXT) | instid1(SALU_CYCLE_1)
	s_and_b32 s2, s2, s4
	s_and_b32 vcc_lo, exec_lo, s2
	s_cbranch_vccnz .LBB17_15
; %bb.1:
	s_add_i32 s2, s38, -1
	s_delay_alu instid0(SALU_CYCLE_1) | instskip(NEXT) | instid1(SALU_CYCLE_1)
	s_ashr_i32 s4, s2, 31
	s_lshr_b32 s4, s4, 27
	s_delay_alu instid0(SALU_CYCLE_1) | instskip(NEXT) | instid1(SALU_CYCLE_1)
	s_add_i32 s2, s2, s4
	s_ashr_i32 s12, s2, 5
	s_delay_alu instid0(SALU_CYCLE_1)
	s_cmp_gt_i32 s14, s12
	s_cbranch_scc1 .LBB17_15
; %bb.2:
	s_clause 0x1
	s_load_b512 s[16:31], s[0:1], 0x18
	s_load_b256 s[4:11], s[0:1], 0x58
	v_and_b32_e32 v8, 0x3ff, v0
	v_bfe_u32 v9, v0, 10, 10
	s_delay_alu instid0(VALU_DEP_2) | instskip(SKIP_1) | instid1(VALU_DEP_2)
	v_lshl_add_u32 v0, s13, 5, v8
	s_load_b32 s13, s[0:1], 0x84
	v_lshlrev_b32_e32 v2, 3, v9
	v_lshlrev_b32_e32 v10, 8, v8
	s_delay_alu instid0(VALU_DEP_3) | instskip(SKIP_1) | instid1(VALU_DEP_4)
	v_ashrrev_i32_e32 v1, 31, v0
	v_cmp_gt_i32_e64 s0, s37, v0
	v_or_b32_e32 v12, 0x2000, v2
	s_delay_alu instid0(VALU_DEP_4) | instskip(NEXT) | instid1(VALU_DEP_4)
	v_add_nc_u32_e32 v11, v10, v2
	v_lshlrev_b64 v[0:1], 3, v[0:1]
	s_delay_alu instid0(VALU_DEP_3)
	v_add_nc_u32_e32 v13, v12, v10
	s_waitcnt lgkmcnt(0)
	s_mul_i32 s1, s15, s23
	s_mul_hi_u32 s2, s15, s22
	s_mul_i32 s22, s15, s22
	s_add_i32 s23, s2, s1
	s_mul_i32 s2, s15, s11
	s_lshl_b64 s[22:23], s[22:23], 3
	s_delay_alu instid0(SALU_CYCLE_1)
	s_add_u32 s1, s16, s22
	s_addc_u32 s22, s17, s23
	s_lshl_b64 s[16:17], s[18:19], 3
	s_mul_hi_u32 s19, s15, s10
	s_add_u32 s11, s1, s16
	s_addc_u32 s16, s22, s17
	s_bitcmp1_b32 s36, 0
	s_mul_i32 s18, s15, s10
	s_cselect_b32 s1, -1, 0
	s_add_i32 s19, s19, s2
	s_mul_i32 s2, s15, s31
	s_lshl_b64 s[18:19], s[18:19], 3
	s_mul_hi_u32 s10, s15, s30
	s_add_u32 s17, s4, s18
	s_addc_u32 s18, s5, s19
	s_lshl_b64 s[4:5], s[6:7], 3
	s_mul_i32 s6, s15, s30
	s_add_u32 s15, s17, s4
	s_addc_u32 s17, s18, s5
	s_add_i32 s7, s10, s2
	s_delay_alu instid0(SALU_CYCLE_1) | instskip(NEXT) | instid1(SALU_CYCLE_1)
	s_lshl_b64 s[4:5], s[6:7], 3
	s_add_u32 s2, s24, s4
	s_addc_u32 s6, s25, s5
	s_lshl_b64 s[4:5], s[26:27], 3
	s_delay_alu instid0(SALU_CYCLE_1)
	s_add_u32 s2, s2, s4
	s_addc_u32 s4, s6, s5
	v_add_co_u32 v14, vcc_lo, s2, v0
	v_add_co_ci_u32_e32 v15, vcc_lo, s4, v1, vcc_lo
	v_add_co_u32 v16, vcc_lo, s15, v0
	v_add_co_ci_u32_e32 v17, vcc_lo, s17, v1, vcc_lo
	s_cmp_gt_i32 s38, 0
	s_cselect_b32 s4, -1, 0
	s_branch .LBB17_4
.LBB17_3:                               ;   in Loop: Header=BB17_4 Depth=1
	s_add_i32 s14, s14, s13
	s_delay_alu instid0(SALU_CYCLE_1)
	s_cmp_gt_i32 s14, s12
	s_cbranch_scc1 .LBB17_15
.LBB17_4:                               ; =>This Loop Header: Depth=1
                                        ;     Child Loop BB17_7 Depth 2
                                        ;       Child Loop BB17_13 Depth 3
	s_and_not1_b32 vcc_lo, exec_lo, s4
	s_cbranch_vccnz .LBB17_3
; %bb.5:                                ;   in Loop: Header=BB17_4 Depth=1
	v_lshl_add_u32 v18, s14, 5, v9
	s_mov_b32 s5, 0
	s_delay_alu instid0(VALU_DEP_1) | instskip(SKIP_3) | instid1(VALU_DEP_4)
	v_ashrrev_i32_e32 v2, 31, v18
	v_mul_lo_u32 v3, v18, s9
	v_mad_u64_u32 v[0:1], null, v18, s8, 0
	v_cmp_gt_i32_e32 vcc_lo, s38, v18
	v_mul_lo_u32 v2, v2, s8
	s_delay_alu instid0(VALU_DEP_1) | instskip(NEXT) | instid1(VALU_DEP_1)
	v_add3_u32 v1, v1, v3, v2
	v_lshlrev_b64 v[0:1], 3, v[0:1]
	s_delay_alu instid0(VALU_DEP_1) | instskip(NEXT) | instid1(VALU_DEP_1)
	v_add_co_u32 v0, s2, v16, v0
	v_add_co_ci_u32_e64 v1, s2, v17, v1, s2
	s_and_b32 s2, s0, vcc_lo
	s_branch .LBB17_7
.LBB17_6:                               ;   in Loop: Header=BB17_7 Depth=2
	s_or_b32 exec_lo, exec_lo, s6
	s_add_i32 s5, s5, 32
	s_waitcnt_vscnt null, 0x0
	s_cmp_ge_i32 s5, s38
	s_barrier
	buffer_gl0_inv
	s_cbranch_scc1 .LBB17_3
.LBB17_7:                               ;   Parent Loop BB17_4 Depth=1
                                        ; =>  This Loop Header: Depth=2
                                        ;       Child Loop BB17_13 Depth 3
	v_dual_mov_b32 v2, 0 :: v_dual_add_nc_u32 v3, s5, v9
	v_dual_mov_b32 v4, 0 :: v_dual_mov_b32 v5, 0
	s_delay_alu instid0(VALU_DEP_2) | instskip(SKIP_1) | instid1(SALU_CYCLE_1)
	v_cmp_gt_i32_e32 vcc_lo, s38, v3
	s_and_b32 s7, s0, vcc_lo
	s_and_saveexec_b32 s6, s7
	s_cbranch_execz .LBB17_9
; %bb.8:                                ;   in Loop: Header=BB17_7 Depth=2
	v_ashrrev_i32_e32 v6, 31, v3
	v_mul_lo_u32 v7, v3, s29
	v_mad_u64_u32 v[4:5], null, v3, s28, 0
	s_delay_alu instid0(VALU_DEP_3) | instskip(NEXT) | instid1(VALU_DEP_1)
	v_mul_lo_u32 v3, v6, s28
	v_add3_u32 v5, v5, v7, v3
	s_delay_alu instid0(VALU_DEP_1) | instskip(NEXT) | instid1(VALU_DEP_1)
	v_lshlrev_b64 v[3:4], 3, v[4:5]
	v_add_co_u32 v3, vcc_lo, v14, v3
	s_delay_alu instid0(VALU_DEP_2)
	v_add_co_ci_u32_e32 v4, vcc_lo, v15, v4, vcc_lo
	global_load_b64 v[4:5], v[3:4], off
.LBB17_9:                               ;   in Loop: Header=BB17_7 Depth=2
	s_or_b32 exec_lo, exec_lo, s6
	v_add_nc_u32_e32 v3, s5, v8
	s_waitcnt vmcnt(0)
	ds_store_b64 v11, v[4:5]
	v_cndmask_b32_e64 v6, v18, v3, s1
	v_cndmask_b32_e64 v7, v3, v18, s1
	s_delay_alu instid0(VALU_DEP_1) | instskip(SKIP_1) | instid1(VALU_DEP_1)
	v_cmp_gt_i32_e32 vcc_lo, v6, v7
	v_dual_cndmask_b32 v6, v3, v18 :: v_dual_cndmask_b32 v7, v18, v3
	v_max_i32_e32 v3, v6, v7
	s_delay_alu instid0(VALU_DEP_1)
	v_cmp_gt_i32_e32 vcc_lo, s38, v3
	v_mov_b32_e32 v3, 0
	s_and_saveexec_b32 s6, vcc_lo
	s_cbranch_execz .LBB17_11
; %bb.10:                               ;   in Loop: Header=BB17_7 Depth=2
	v_ashrrev_i32_e32 v4, 31, v7
	v_mul_lo_u32 v5, v7, s21
	v_mad_u64_u32 v[2:3], null, v7, s20, 0
	v_ashrrev_i32_e32 v7, 31, v6
	s_delay_alu instid0(VALU_DEP_4) | instskip(NEXT) | instid1(VALU_DEP_1)
	v_mul_lo_u32 v4, v4, s20
	v_add3_u32 v3, v3, v5, v4
	s_delay_alu instid0(VALU_DEP_3) | instskip(NEXT) | instid1(VALU_DEP_2)
	v_lshlrev_b64 v[4:5], 3, v[6:7]
	v_lshlrev_b64 v[2:3], 3, v[2:3]
	s_delay_alu instid0(VALU_DEP_1) | instskip(NEXT) | instid1(VALU_DEP_2)
	v_add_co_u32 v2, vcc_lo, s11, v2
	v_add_co_ci_u32_e32 v3, vcc_lo, s16, v3, vcc_lo
	s_delay_alu instid0(VALU_DEP_2) | instskip(NEXT) | instid1(VALU_DEP_2)
	v_add_co_u32 v2, vcc_lo, v2, v4
	v_add_co_ci_u32_e32 v3, vcc_lo, v3, v5, vcc_lo
	global_load_b64 v[2:3], v[2:3], off
.LBB17_11:                              ;   in Loop: Header=BB17_7 Depth=2
	s_or_b32 exec_lo, exec_lo, s6
	s_waitcnt vmcnt(0)
	ds_store_b64 v13, v[2:3]
	s_waitcnt lgkmcnt(0)
	s_barrier
	buffer_gl0_inv
	s_and_saveexec_b32 s6, s2
	s_cbranch_execz .LBB17_6
; %bb.12:                               ;   in Loop: Header=BB17_7 Depth=2
	v_dual_mov_b32 v3, 0 :: v_dual_mov_b32 v2, v12
	v_mov_b32_e32 v4, 0
	s_mov_b32 s7, 0
.LBB17_13:                              ;   Parent Loop BB17_4 Depth=1
                                        ;     Parent Loop BB17_7 Depth=2
                                        ; =>    This Inner Loop Header: Depth=3
	s_delay_alu instid0(SALU_CYCLE_1)
	v_add_nc_u32_e32 v5, s7, v10
	ds_load_2addr_b64 v[19:22], v2 offset1:32
	ds_load_2addr_b64 v[23:26], v2 offset0:64 offset1:96
	ds_load_2addr_b64 v[27:30], v2 offset0:128 offset1:160
	;; [unrolled: 1-line block ×3, first 2 shown]
	ds_load_b128 v[35:38], v5
	ds_load_b128 v[39:42], v5 offset:16
	ds_load_b128 v[43:46], v5 offset:32
	;; [unrolled: 1-line block ×3, first 2 shown]
	v_add_nc_u32_e32 v2, 0x800, v2
	s_add_i32 s7, s7, 64
	s_delay_alu instid0(SALU_CYCLE_1)
	s_cmpk_eq_i32 s7, 0x100
	s_waitcnt lgkmcnt(3)
	v_mul_f32_e32 v6, v19, v36
	v_dual_mul_f32 v5, v20, v36 :: v_dual_mul_f32 v36, v21, v38
	s_waitcnt lgkmcnt(2)
	v_dual_mul_f32 v7, v22, v38 :: v_dual_mul_f32 v38, v24, v40
	v_dual_mul_f32 v40, v23, v40 :: v_dual_mul_f32 v51, v26, v42
	s_delay_alu instid0(VALU_DEP_3)
	v_fma_f32 v5, v19, v35, -v5
	v_mul_f32_e32 v42, v25, v42
	v_fmac_f32_e32 v6, v20, v35
	v_fma_f32 v7, v21, v37, -v7
	s_waitcnt lgkmcnt(1)
	v_dual_mul_f32 v52, v28, v44 :: v_dual_mul_f32 v19, v30, v46
	v_add_f32_e32 v3, v3, v5
	v_dual_mul_f32 v44, v27, v44 :: v_dual_mul_f32 v5, v29, v46
	v_fmac_f32_e32 v36, v22, v37
	v_add_f32_e32 v4, v4, v6
	v_fma_f32 v6, v23, v39, -v38
	v_add_f32_e32 v3, v3, v7
	v_dual_fmac_f32 v5, v30, v45 :: v_dual_fmac_f32 v40, v24, v39
	v_fma_f32 v20, v25, v41, -v51
	v_fma_f32 v21, v27, v43, -v52
	s_delay_alu instid0(VALU_DEP_4) | instskip(SKIP_3) | instid1(VALU_DEP_3)
	v_add_f32_e32 v3, v3, v6
	s_waitcnt lgkmcnt(0)
	v_dual_mul_f32 v7, v32, v48 :: v_dual_fmac_f32 v42, v26, v41
	v_fma_f32 v19, v29, v45, -v19
	v_add_f32_e32 v3, v3, v20
	v_add_f32_e32 v4, v4, v36
	s_delay_alu instid0(VALU_DEP_4) | instskip(NEXT) | instid1(VALU_DEP_2)
	v_fma_f32 v7, v31, v47, -v7
	v_dual_add_f32 v3, v3, v21 :: v_dual_add_f32 v4, v4, v40
	v_dual_mul_f32 v21, v33, v50 :: v_dual_mul_f32 v6, v31, v48
	s_delay_alu instid0(VALU_DEP_2) | instskip(SKIP_1) | instid1(VALU_DEP_3)
	v_dual_add_f32 v3, v3, v19 :: v_dual_add_f32 v4, v4, v42
	v_mul_f32_e32 v20, v34, v50
	v_dual_fmac_f32 v21, v34, v49 :: v_dual_fmac_f32 v6, v32, v47
	s_delay_alu instid0(VALU_DEP_3) | instskip(SKIP_1) | instid1(VALU_DEP_1)
	v_add_f32_e32 v3, v3, v7
	v_fmac_f32_e32 v44, v28, v43
	v_add_f32_e32 v4, v4, v44
	s_delay_alu instid0(VALU_DEP_1) | instskip(SKIP_1) | instid1(VALU_DEP_1)
	v_add_f32_e32 v4, v4, v5
	v_fma_f32 v5, v33, v49, -v20
	v_dual_add_f32 v4, v4, v6 :: v_dual_add_f32 v3, v3, v5
	s_delay_alu instid0(VALU_DEP_1)
	v_add_f32_e32 v4, v4, v21
	s_cbranch_scc0 .LBB17_13
; %bb.14:                               ;   in Loop: Header=BB17_7 Depth=2
	global_load_b64 v[5:6], v[0:1], off
	v_dual_mul_f32 v2, s3, v4 :: v_dual_mul_f32 v7, s3, v3
	s_delay_alu instid0(VALU_DEP_1) | instskip(SKIP_1) | instid1(VALU_DEP_1)
	v_fma_f32 v2, s39, v3, -v2
	s_waitcnt vmcnt(0)
	v_dual_fmac_f32 v7, s39, v4 :: v_dual_add_f32 v2, v2, v5
	s_delay_alu instid0(VALU_DEP_1)
	v_add_f32_e32 v3, v7, v6
	global_store_b64 v[0:1], v[2:3], off
	s_branch .LBB17_6
.LBB17_15:
	s_endpgm
	.section	.rodata,"a",@progbits
	.p2align	6, 0x0
	.amdhsa_kernel _ZL24rocblas_symm_hemm_kernelILb0ELb1ELi32E19rocblas_complex_numIfEPKS1_PS1_EvbiiT2_T3_lllS6_lllT4_llli
		.amdhsa_group_segment_fixed_size 16384
		.amdhsa_private_segment_fixed_size 0
		.amdhsa_kernarg_size 384
		.amdhsa_user_sgpr_count 13
		.amdhsa_user_sgpr_dispatch_ptr 0
		.amdhsa_user_sgpr_queue_ptr 0
		.amdhsa_user_sgpr_kernarg_segment_ptr 1
		.amdhsa_user_sgpr_dispatch_id 0
		.amdhsa_user_sgpr_private_segment_size 0
		.amdhsa_wavefront_size32 1
		.amdhsa_uses_dynamic_stack 0
		.amdhsa_enable_private_segment 0
		.amdhsa_system_sgpr_workgroup_id_x 1
		.amdhsa_system_sgpr_workgroup_id_y 1
		.amdhsa_system_sgpr_workgroup_id_z 1
		.amdhsa_system_sgpr_workgroup_info 0
		.amdhsa_system_vgpr_workitem_id 1
		.amdhsa_next_free_vgpr 53
		.amdhsa_next_free_sgpr 40
		.amdhsa_reserve_vcc 1
		.amdhsa_float_round_mode_32 0
		.amdhsa_float_round_mode_16_64 0
		.amdhsa_float_denorm_mode_32 3
		.amdhsa_float_denorm_mode_16_64 3
		.amdhsa_dx10_clamp 1
		.amdhsa_ieee_mode 1
		.amdhsa_fp16_overflow 0
		.amdhsa_workgroup_processor_mode 1
		.amdhsa_memory_ordered 1
		.amdhsa_forward_progress 0
		.amdhsa_shared_vgpr_count 0
		.amdhsa_exception_fp_ieee_invalid_op 0
		.amdhsa_exception_fp_denorm_src 0
		.amdhsa_exception_fp_ieee_div_zero 0
		.amdhsa_exception_fp_ieee_overflow 0
		.amdhsa_exception_fp_ieee_underflow 0
		.amdhsa_exception_fp_ieee_inexact 0
		.amdhsa_exception_int_div_zero 0
	.end_amdhsa_kernel
	.section	.text._ZL24rocblas_symm_hemm_kernelILb0ELb1ELi32E19rocblas_complex_numIfEPKS1_PS1_EvbiiT2_T3_lllS6_lllT4_llli,"axG",@progbits,_ZL24rocblas_symm_hemm_kernelILb0ELb1ELi32E19rocblas_complex_numIfEPKS1_PS1_EvbiiT2_T3_lllS6_lllT4_llli,comdat
.Lfunc_end17:
	.size	_ZL24rocblas_symm_hemm_kernelILb0ELb1ELi32E19rocblas_complex_numIfEPKS1_PS1_EvbiiT2_T3_lllS6_lllT4_llli, .Lfunc_end17-_ZL24rocblas_symm_hemm_kernelILb0ELb1ELi32E19rocblas_complex_numIfEPKS1_PS1_EvbiiT2_T3_lllS6_lllT4_llli
                                        ; -- End function
	.section	.AMDGPU.csdata,"",@progbits
; Kernel info:
; codeLenInByte = 1316
; NumSgprs: 42
; NumVgprs: 53
; ScratchSize: 0
; MemoryBound: 0
; FloatMode: 240
; IeeeMode: 1
; LDSByteSize: 16384 bytes/workgroup (compile time only)
; SGPRBlocks: 5
; VGPRBlocks: 6
; NumSGPRsForWavesPerEU: 42
; NumVGPRsForWavesPerEU: 53
; Occupancy: 16
; WaveLimiterHint : 0
; COMPUTE_PGM_RSRC2:SCRATCH_EN: 0
; COMPUTE_PGM_RSRC2:USER_SGPR: 13
; COMPUTE_PGM_RSRC2:TRAP_HANDLER: 0
; COMPUTE_PGM_RSRC2:TGID_X_EN: 1
; COMPUTE_PGM_RSRC2:TGID_Y_EN: 1
; COMPUTE_PGM_RSRC2:TGID_Z_EN: 1
; COMPUTE_PGM_RSRC2:TIDIG_COMP_CNT: 1
	.section	.text._ZL25rocblas_symm_scale_kernelILi128ELi8EPK19rocblas_complex_numIdEPS1_EviiT1_T2_llli,"axG",@progbits,_ZL25rocblas_symm_scale_kernelILi128ELi8EPK19rocblas_complex_numIdEPS1_EviiT1_T2_llli,comdat
	.globl	_ZL25rocblas_symm_scale_kernelILi128ELi8EPK19rocblas_complex_numIdEPS1_EviiT1_T2_llli ; -- Begin function _ZL25rocblas_symm_scale_kernelILi128ELi8EPK19rocblas_complex_numIdEPS1_EviiT1_T2_llli
	.p2align	8
	.type	_ZL25rocblas_symm_scale_kernelILi128ELi8EPK19rocblas_complex_numIdEPS1_EviiT1_T2_llli,@function
_ZL25rocblas_symm_scale_kernelILi128ELi8EPK19rocblas_complex_numIdEPS1_EviiT1_T2_llli: ; @_ZL25rocblas_symm_scale_kernelILi128ELi8EPK19rocblas_complex_numIdEPS1_EviiT1_T2_llli
; %bb.0:
	s_load_b256 s[4:11], s[0:1], 0x8
	s_waitcnt lgkmcnt(0)
	s_load_b128 s[16:19], s[4:5], 0x0
	s_waitcnt lgkmcnt(0)
	v_cmp_eq_f64_e64 s2, s[16:17], 1.0
	v_cmp_eq_f64_e64 s3, s[18:19], 0
	s_delay_alu instid0(VALU_DEP_1) | instskip(NEXT) | instid1(SALU_CYCLE_1)
	s_and_b32 s2, s2, s3
	s_and_b32 vcc_lo, exec_lo, s2
	s_cbranch_vccnz .LBB18_6
; %bb.1:
	s_load_b64 s[2:3], s[0:1], 0x0
	v_bfe_u32 v1, v0, 10, 10
	v_dual_mov_b32 v5, 0 :: v_dual_and_b32 v0, 0x3ff, v0
	s_delay_alu instid0(VALU_DEP_2) | instskip(NEXT) | instid1(VALU_DEP_2)
	v_lshl_add_u32 v4, s14, 3, v1
	v_lshl_add_u32 v0, s13, 7, v0
	s_waitcnt lgkmcnt(0)
	s_ashr_i32 s5, s3, 31
	s_mov_b32 s4, s3
	s_delay_alu instid0(VALU_DEP_1) | instskip(SKIP_1) | instid1(VALU_DEP_2)
	v_cmp_gt_u32_e64 s2, s2, v0
	v_cmp_gt_i64_e32 vcc_lo, s[4:5], v[4:5]
	s_and_b32 s2, s2, vcc_lo
	s_delay_alu instid0(SALU_CYCLE_1)
	s_and_saveexec_b32 s3, s2
	s_cbranch_execz .LBB18_6
; %bb.2:
	v_cmp_neq_f64_e64 s14, s[16:17], 0
	v_cmp_neq_f64_e64 s20, s[18:19], 0
	v_mad_u64_u32 v[2:3], null, s10, v4, 0
	s_clause 0x1
	s_load_b32 s21, s[0:1], 0x3c
	s_load_b64 s[2:3], s[0:1], 0x28
	s_lshl_b64 s[12:13], s[8:9], 4
	s_delay_alu instid0(VALU_DEP_1) | instskip(NEXT) | instid1(VALU_DEP_1)
	v_mov_b32_e32 v1, v3
	v_mad_u64_u32 v[6:7], null, s11, v4, v[1:2]
	v_mov_b32_e32 v1, v5
	s_delay_alu instid0(VALU_DEP_1) | instskip(NEXT) | instid1(VALU_DEP_3)
	v_lshlrev_b64 v[0:1], 4, v[0:1]
	v_mov_b32_e32 v3, v6
	s_waitcnt lgkmcnt(0)
	s_lshl_b32 s1, s21, 3
	s_mul_i32 s0, s3, s15
	s_mul_hi_u32 s3, s2, s15
	s_mul_i32 s2, s2, s15
	s_add_i32 s3, s3, s0
	v_lshlrev_b64 v[2:3], 4, v[2:3]
	s_lshl_b64 s[2:3], s[2:3], 4
	s_or_b32 s8, s14, s20
	s_add_u32 s0, s12, s2
	s_addc_u32 s2, s13, s3
	s_delay_alu instid0(VALU_DEP_1) | instskip(SKIP_2) | instid1(VALU_DEP_2)
	v_add_co_u32 v2, vcc_lo, s0, v2
	v_add_co_ci_u32_e32 v3, vcc_lo, s2, v3, vcc_lo
	s_mul_i32 s0, s11, s1
	v_add_co_u32 v0, vcc_lo, v2, v0
	s_delay_alu instid0(VALU_DEP_2) | instskip(SKIP_1) | instid1(VALU_DEP_2)
	v_add_co_ci_u32_e32 v1, vcc_lo, v3, v1, vcc_lo
	s_mul_hi_u32 s2, s10, s1
	v_add_co_u32 v0, vcc_lo, v0, s6
	s_delay_alu instid0(VALU_DEP_2) | instskip(SKIP_1) | instid1(VALU_DEP_2)
	v_add_co_ci_u32_e32 v1, vcc_lo, s7, v1, vcc_lo
	s_add_i32 s3, s2, s0
	v_add_co_u32 v6, vcc_lo, v0, 8
	s_delay_alu instid0(VALU_DEP_2)
	v_add_co_ci_u32_e32 v7, vcc_lo, 0, v1, vcc_lo
	s_mul_i32 s2, s10, s1
	s_mov_b32 s6, 0
	s_lshl_b64 s[2:3], s[2:3], 4
	s_set_inst_prefetch_distance 0x1
	s_branch .LBB18_4
	.p2align	6
.LBB18_3:                               ;   in Loop: Header=BB18_4 Depth=1
	v_add_co_u32 v4, vcc_lo, v4, s1
	v_add_co_ci_u32_e32 v5, vcc_lo, 0, v5, vcc_lo
	global_store_b128 v[6:7], v[0:3], off offset:-8
	v_add_co_u32 v6, s0, v6, s2
	v_cmp_le_i64_e32 vcc_lo, s[4:5], v[4:5]
	v_add_co_ci_u32_e64 v7, s0, s3, v7, s0
	s_or_b32 s6, vcc_lo, s6
	s_delay_alu instid0(SALU_CYCLE_1)
	s_and_not1_b32 exec_lo, exec_lo, s6
	s_cbranch_execz .LBB18_6
.LBB18_4:                               ; =>This Inner Loop Header: Depth=1
	v_mov_b32_e32 v2, 0
	v_mov_b32_e32 v3, 0
	s_delay_alu instid0(VALU_DEP_2) | instskip(SKIP_1) | instid1(VALU_DEP_2)
	v_mov_b32_e32 v0, v2
	s_and_not1_b32 vcc_lo, exec_lo, s8
	v_mov_b32_e32 v1, v3
	s_cbranch_vccnz .LBB18_3
; %bb.5:                                ;   in Loop: Header=BB18_4 Depth=1
	global_load_b128 v[8:11], v[6:7], off offset:-8
	s_waitcnt vmcnt(0)
	v_mul_f64 v[0:1], s[18:19], v[10:11]
	v_mul_f64 v[2:3], s[16:17], v[10:11]
	s_delay_alu instid0(VALU_DEP_2) | instskip(NEXT) | instid1(VALU_DEP_2)
	v_fma_f64 v[0:1], s[16:17], v[8:9], -v[0:1]
	v_fma_f64 v[2:3], s[18:19], v[8:9], v[2:3]
	s_branch .LBB18_3
.LBB18_6:
	s_set_inst_prefetch_distance 0x2
	s_nop 0
	s_sendmsg sendmsg(MSG_DEALLOC_VGPRS)
	s_endpgm
	.section	.rodata,"a",@progbits
	.p2align	6, 0x0
	.amdhsa_kernel _ZL25rocblas_symm_scale_kernelILi128ELi8EPK19rocblas_complex_numIdEPS1_EviiT1_T2_llli
		.amdhsa_group_segment_fixed_size 0
		.amdhsa_private_segment_fixed_size 0
		.amdhsa_kernarg_size 312
		.amdhsa_user_sgpr_count 13
		.amdhsa_user_sgpr_dispatch_ptr 0
		.amdhsa_user_sgpr_queue_ptr 0
		.amdhsa_user_sgpr_kernarg_segment_ptr 1
		.amdhsa_user_sgpr_dispatch_id 0
		.amdhsa_user_sgpr_private_segment_size 0
		.amdhsa_wavefront_size32 1
		.amdhsa_uses_dynamic_stack 0
		.amdhsa_enable_private_segment 0
		.amdhsa_system_sgpr_workgroup_id_x 1
		.amdhsa_system_sgpr_workgroup_id_y 1
		.amdhsa_system_sgpr_workgroup_id_z 1
		.amdhsa_system_sgpr_workgroup_info 0
		.amdhsa_system_vgpr_workitem_id 1
		.amdhsa_next_free_vgpr 12
		.amdhsa_next_free_sgpr 22
		.amdhsa_reserve_vcc 1
		.amdhsa_float_round_mode_32 0
		.amdhsa_float_round_mode_16_64 0
		.amdhsa_float_denorm_mode_32 3
		.amdhsa_float_denorm_mode_16_64 3
		.amdhsa_dx10_clamp 1
		.amdhsa_ieee_mode 1
		.amdhsa_fp16_overflow 0
		.amdhsa_workgroup_processor_mode 1
		.amdhsa_memory_ordered 1
		.amdhsa_forward_progress 0
		.amdhsa_shared_vgpr_count 0
		.amdhsa_exception_fp_ieee_invalid_op 0
		.amdhsa_exception_fp_denorm_src 0
		.amdhsa_exception_fp_ieee_div_zero 0
		.amdhsa_exception_fp_ieee_overflow 0
		.amdhsa_exception_fp_ieee_underflow 0
		.amdhsa_exception_fp_ieee_inexact 0
		.amdhsa_exception_int_div_zero 0
	.end_amdhsa_kernel
	.section	.text._ZL25rocblas_symm_scale_kernelILi128ELi8EPK19rocblas_complex_numIdEPS1_EviiT1_T2_llli,"axG",@progbits,_ZL25rocblas_symm_scale_kernelILi128ELi8EPK19rocblas_complex_numIdEPS1_EviiT1_T2_llli,comdat
.Lfunc_end18:
	.size	_ZL25rocblas_symm_scale_kernelILi128ELi8EPK19rocblas_complex_numIdEPS1_EviiT1_T2_llli, .Lfunc_end18-_ZL25rocblas_symm_scale_kernelILi128ELi8EPK19rocblas_complex_numIdEPS1_EviiT1_T2_llli
                                        ; -- End function
	.section	.AMDGPU.csdata,"",@progbits
; Kernel info:
; codeLenInByte = 528
; NumSgprs: 24
; NumVgprs: 12
; ScratchSize: 0
; MemoryBound: 0
; FloatMode: 240
; IeeeMode: 1
; LDSByteSize: 0 bytes/workgroup (compile time only)
; SGPRBlocks: 2
; VGPRBlocks: 1
; NumSGPRsForWavesPerEU: 24
; NumVGPRsForWavesPerEU: 12
; Occupancy: 16
; WaveLimiterHint : 0
; COMPUTE_PGM_RSRC2:SCRATCH_EN: 0
; COMPUTE_PGM_RSRC2:USER_SGPR: 13
; COMPUTE_PGM_RSRC2:TRAP_HANDLER: 0
; COMPUTE_PGM_RSRC2:TGID_X_EN: 1
; COMPUTE_PGM_RSRC2:TGID_Y_EN: 1
; COMPUTE_PGM_RSRC2:TGID_Z_EN: 1
; COMPUTE_PGM_RSRC2:TIDIG_COMP_CNT: 1
	.section	.text._ZL24rocblas_symm_hemm_kernelILb0ELb0ELi32EPK19rocblas_complex_numIdES3_PS1_EvbiiT2_T3_lllS6_lllT4_llli,"axG",@progbits,_ZL24rocblas_symm_hemm_kernelILb0ELb0ELi32EPK19rocblas_complex_numIdES3_PS1_EvbiiT2_T3_lllS6_lllT4_llli,comdat
	.globl	_ZL24rocblas_symm_hemm_kernelILb0ELb0ELi32EPK19rocblas_complex_numIdES3_PS1_EvbiiT2_T3_lllS6_lllT4_llli ; -- Begin function _ZL24rocblas_symm_hemm_kernelILb0ELb0ELi32EPK19rocblas_complex_numIdES3_PS1_EvbiiT2_T3_lllS6_lllT4_llli
	.p2align	8
	.type	_ZL24rocblas_symm_hemm_kernelILb0ELb0ELi32EPK19rocblas_complex_numIdES3_PS1_EvbiiT2_T3_lllS6_lllT4_llli,@function
_ZL24rocblas_symm_hemm_kernelILb0ELb0ELi32EPK19rocblas_complex_numIdES3_PS1_EvbiiT2_T3_lllS6_lllT4_llli: ; @_ZL24rocblas_symm_hemm_kernelILb0ELb0ELi32EPK19rocblas_complex_numIdES3_PS1_EvbiiT2_T3_lllS6_lllT4_llli
; %bb.0:
	s_load_b512 s[16:31], s[0:1], 0x10
	s_waitcnt lgkmcnt(0)
	s_load_b128 s[36:39], s[16:17], 0x0
	s_waitcnt lgkmcnt(0)
	v_cmp_eq_f64_e64 s2, s[36:37], 0
	v_cmp_eq_f64_e64 s3, s[38:39], 0
	s_delay_alu instid0(VALU_DEP_1) | instskip(NEXT) | instid1(SALU_CYCLE_1)
	s_and_b32 s2, s2, s3
	s_and_b32 vcc_lo, exec_lo, s2
	s_cbranch_vccnz .LBB19_15
; %bb.1:
	s_load_b128 s[40:43], s[0:1], 0x0
	s_waitcnt lgkmcnt(0)
	s_add_i32 s2, s42, -1
	s_delay_alu instid0(SALU_CYCLE_1) | instskip(NEXT) | instid1(SALU_CYCLE_1)
	s_ashr_i32 s3, s2, 31
	s_lshr_b32 s3, s3, 27
	s_delay_alu instid0(SALU_CYCLE_1) | instskip(NEXT) | instid1(SALU_CYCLE_1)
	s_add_i32 s2, s2, s3
	s_ashr_i32 s3, s2, 5
	s_delay_alu instid0(SALU_CYCLE_1)
	s_cmp_gt_i32 s14, s3
	s_cbranch_scc1 .LBB19_15
; %bb.2:
	s_load_b256 s[4:11], s[0:1], 0x50
	s_mul_i32 s2, s15, s25
	s_mul_hi_u32 s12, s15, s24
	s_load_b64 s[34:35], s[0:1], 0x70
	s_mul_i32 s16, s15, s24
	s_add_i32 s17, s12, s2
	s_load_b32 s12, s[0:1], 0x84
	v_and_b32_e32 v13, 0x3ff, v0
	s_lshl_b64 s[16:17], s[16:17], 4
	v_bfe_u32 v14, v0, 10, 10
	s_add_u32 s2, s18, s16
	s_addc_u32 s16, s19, s17
	s_lshl_b64 s[0:1], s[20:21], 4
	v_lshl_add_u32 v8, s13, 5, v13
	s_add_u32 s13, s2, s0
	s_addc_u32 s16, s16, s1
	v_lshlrev_b32_e32 v2, 4, v14
	v_lshlrev_b32_e32 v15, 9, v13
	v_ashrrev_i32_e32 v9, 31, v8
	s_waitcnt lgkmcnt(0)
	s_mul_i32 s1, s15, s5
	s_mul_hi_u32 s2, s15, s4
	s_mul_i32 s0, s15, s4
	s_add_i32 s1, s2, s1
	s_mul_i32 s2, s15, s35
	s_lshl_b64 s[0:1], s[0:1], 4
	s_mul_hi_u32 s17, s15, s34
	s_add_u32 s4, s26, s0
	s_addc_u32 s5, s27, s1
	s_lshl_b64 s[0:1], s[28:29], 4
	s_mul_i32 s18, s15, s34
	s_add_u32 s4, s4, s0
	s_addc_u32 s5, s5, s1
	s_bitcmp1_b32 s40, 0
	v_lshlrev_b64 v[0:1], 4, v[8:9]
	s_cselect_b32 s0, -1, 0
	s_add_i32 s19, s17, s2
	v_or_b32_e32 v16, 0x4000, v2
	s_lshl_b64 s[18:19], s[18:19], 4
	v_add_nc_u32_e32 v17, v15, v2
	s_add_u32 s1, s6, s18
	s_addc_u32 s2, s7, s19
	s_lshl_b64 s[6:7], s[8:9], 4
	v_add_nc_u32_e32 v18, v16, v15
	s_add_u32 s6, s1, s6
	s_addc_u32 s2, s2, s7
	v_add_co_u32 v19, vcc_lo, s6, v0
	v_cmp_gt_i32_e64 s1, s41, v8
	v_add_co_ci_u32_e32 v20, vcc_lo, s2, v1, vcc_lo
	s_cmp_gt_i32 s41, 0
	s_cselect_b32 s6, -1, 0
	s_branch .LBB19_4
.LBB19_3:                               ;   in Loop: Header=BB19_4 Depth=1
	s_add_i32 s14, s14, s12
	s_delay_alu instid0(SALU_CYCLE_1)
	s_cmp_gt_i32 s14, s3
	s_cbranch_scc1 .LBB19_15
.LBB19_4:                               ; =>This Loop Header: Depth=1
                                        ;     Child Loop BB19_7 Depth 2
                                        ;       Child Loop BB19_13 Depth 3
	s_and_not1_b32 vcc_lo, exec_lo, s6
	s_cbranch_vccnz .LBB19_3
; %bb.5:                                ;   in Loop: Header=BB19_4 Depth=1
	v_lshl_add_u32 v4, s14, 5, v14
	s_mov_b32 s8, 0
	s_delay_alu instid0(VALU_DEP_1) | instskip(SKIP_3) | instid1(VALU_DEP_4)
	v_ashrrev_i32_e32 v5, 31, v4
	v_mul_lo_u32 v6, v4, s31
	v_mad_u64_u32 v[0:1], null, v4, s30, 0
	v_mul_lo_u32 v9, v4, s11
	v_mul_lo_u32 v7, v5, s30
	v_mad_u64_u32 v[2:3], null, v4, s10, 0
	v_mul_lo_u32 v5, v5, s10
	v_cmp_gt_i32_e32 vcc_lo, s42, v4
	s_delay_alu instid0(VALU_DEP_4) | instskip(SKIP_1) | instid1(VALU_DEP_3)
	v_add3_u32 v1, v1, v6, v7
	s_and_b32 s7, s1, vcc_lo
	v_add3_u32 v3, v3, v9, v5
	s_delay_alu instid0(VALU_DEP_2) | instskip(NEXT) | instid1(VALU_DEP_2)
	v_lshlrev_b64 v[0:1], 4, v[0:1]
	v_lshlrev_b64 v[2:3], 4, v[2:3]
	s_delay_alu instid0(VALU_DEP_2) | instskip(NEXT) | instid1(VALU_DEP_1)
	v_add_co_u32 v21, s2, s4, v0
	v_add_co_ci_u32_e64 v22, s2, s5, v1, s2
	s_delay_alu instid0(VALU_DEP_3) | instskip(NEXT) | instid1(VALU_DEP_1)
	v_add_co_u32 v9, s2, v19, v2
	v_add_co_ci_u32_e64 v10, s2, v20, v3, s2
	s_branch .LBB19_7
.LBB19_6:                               ;   in Loop: Header=BB19_7 Depth=2
	s_or_b32 exec_lo, exec_lo, s2
	s_add_i32 s8, s8, 32
	s_waitcnt_vscnt null, 0x0
	s_cmp_ge_i32 s8, s41
	s_barrier
	buffer_gl0_inv
	s_cbranch_scc1 .LBB19_3
.LBB19_7:                               ;   Parent Loop BB19_4 Depth=1
                                        ; =>  This Loop Header: Depth=2
                                        ;       Child Loop BB19_13 Depth 3
	v_add_nc_u32_e32 v0, s8, v14
	s_delay_alu instid0(VALU_DEP_1) | instskip(SKIP_1) | instid1(VALU_DEP_1)
	v_cndmask_b32_e64 v1, v0, v8, s0
	v_cndmask_b32_e64 v2, v8, v0, s0
	v_cmp_gt_i32_e64 s2, v1, v2
	s_delay_alu instid0(VALU_DEP_1) | instskip(SKIP_3) | instid1(VALU_DEP_3)
	v_cndmask_b32_e64 v2, v8, v0, s2
	v_cndmask_b32_e64 v3, v0, v8, s2
	v_mov_b32_e32 v0, 0
	v_mov_b32_e32 v1, 0
	v_max_i32_e32 v6, v2, v3
	s_delay_alu instid0(VALU_DEP_2) | instskip(NEXT) | instid1(VALU_DEP_2)
	v_dual_mov_b32 v5, v1 :: v_dual_mov_b32 v4, v0
	v_cmp_gt_i32_e64 s2, s41, v6
	v_dual_mov_b32 v7, v1 :: v_dual_mov_b32 v6, v0
	s_delay_alu instid0(VALU_DEP_2)
	s_and_saveexec_b32 s9, s2
	s_cbranch_execz .LBB19_9
; %bb.8:                                ;   in Loop: Header=BB19_7 Depth=2
	v_ashrrev_i32_e32 v6, 31, v3
	v_mul_lo_u32 v7, v3, s23
	v_mad_u64_u32 v[4:5], null, v3, s22, 0
	s_delay_alu instid0(VALU_DEP_3) | instskip(NEXT) | instid1(VALU_DEP_1)
	v_mul_lo_u32 v3, v6, s22
	v_add3_u32 v5, v5, v7, v3
	v_ashrrev_i32_e32 v3, 31, v2
	s_delay_alu instid0(VALU_DEP_2) | instskip(NEXT) | instid1(VALU_DEP_2)
	v_lshlrev_b64 v[4:5], 4, v[4:5]
	v_lshlrev_b64 v[2:3], 4, v[2:3]
	s_delay_alu instid0(VALU_DEP_2) | instskip(NEXT) | instid1(VALU_DEP_1)
	v_add_co_u32 v4, s2, s13, v4
	v_add_co_ci_u32_e64 v5, s2, s16, v5, s2
	s_delay_alu instid0(VALU_DEP_2) | instskip(NEXT) | instid1(VALU_DEP_1)
	v_add_co_u32 v2, s2, v4, v2
	v_add_co_ci_u32_e64 v3, s2, v5, v3, s2
	global_load_b128 v[4:7], v[2:3], off
.LBB19_9:                               ;   in Loop: Header=BB19_7 Depth=2
	s_or_b32 exec_lo, exec_lo, s9
	v_add_nc_u32_e32 v11, s8, v13
	v_dual_mov_b32 v3, v1 :: v_dual_mov_b32 v2, v0
	s_waitcnt vmcnt(0)
	ds_store_b128 v17, v[4:7]
	v_cmp_gt_i32_e64 s2, s41, v11
	s_delay_alu instid0(VALU_DEP_1) | instskip(NEXT) | instid1(SALU_CYCLE_1)
	s_and_b32 s2, s2, vcc_lo
	s_and_saveexec_b32 s9, s2
	s_cbranch_execz .LBB19_11
; %bb.10:                               ;   in Loop: Header=BB19_7 Depth=2
	v_ashrrev_i32_e32 v12, 31, v11
	s_delay_alu instid0(VALU_DEP_1) | instskip(NEXT) | instid1(VALU_DEP_1)
	v_lshlrev_b64 v[0:1], 4, v[11:12]
	v_add_co_u32 v0, s2, v21, v0
	s_delay_alu instid0(VALU_DEP_1)
	v_add_co_ci_u32_e64 v1, s2, v22, v1, s2
	global_load_b128 v[0:3], v[0:1], off
.LBB19_11:                              ;   in Loop: Header=BB19_7 Depth=2
	s_or_b32 exec_lo, exec_lo, s9
	s_waitcnt vmcnt(0)
	ds_store_b128 v18, v[0:3]
	s_waitcnt lgkmcnt(0)
	s_barrier
	buffer_gl0_inv
	s_and_saveexec_b32 s2, s7
	s_cbranch_execz .LBB19_6
; %bb.12:                               ;   in Loop: Header=BB19_7 Depth=2
	v_mov_b32_e32 v0, 0
	v_dual_mov_b32 v1, 0 :: v_dual_mov_b32 v4, v16
	s_mov_b32 s9, 0
	s_delay_alu instid0(VALU_DEP_1)
	v_dual_mov_b32 v3, v1 :: v_dual_mov_b32 v2, v0
.LBB19_13:                              ;   Parent Loop BB19_4 Depth=1
                                        ;     Parent Loop BB19_7 Depth=2
                                        ; =>    This Inner Loop Header: Depth=3
	v_add_nc_u32_e32 v7, s9, v15
	s_addk_i32 s9, 0x80
	ds_load_b128 v[23:26], v4
	ds_load_b128 v[27:30], v7
	ds_load_b128 v[31:34], v4 offset:512
	ds_load_b128 v[35:38], v7 offset:16
	s_cmpk_eq_i32 s9, 0x200
	s_waitcnt lgkmcnt(2)
	v_mul_f64 v[5:6], v[25:26], v[29:30]
	v_mul_f64 v[11:12], v[23:24], v[29:30]
	s_waitcnt lgkmcnt(0)
	v_mul_f64 v[45:46], v[33:34], v[37:38]
	v_mul_f64 v[47:48], v[31:32], v[37:38]
	s_delay_alu instid0(VALU_DEP_4) | instskip(NEXT) | instid1(VALU_DEP_4)
	v_fma_f64 v[5:6], v[23:24], v[27:28], -v[5:6]
	v_fma_f64 v[11:12], v[25:26], v[27:28], v[11:12]
	ds_load_b128 v[23:26], v4 offset:1024
	ds_load_b128 v[27:30], v7 offset:32
	;; [unrolled: 1-line block ×4, first 2 shown]
	v_fma_f64 v[31:32], v[31:32], v[35:36], -v[45:46]
	v_fma_f64 v[33:34], v[33:34], v[35:36], v[47:48]
	s_waitcnt lgkmcnt(2)
	v_mul_f64 v[49:50], v[25:26], v[29:30]
	v_mul_f64 v[29:30], v[23:24], v[29:30]
	v_add_f64 v[0:1], v[0:1], v[5:6]
	v_add_f64 v[2:3], v[2:3], v[11:12]
	s_waitcnt lgkmcnt(0)
	v_mul_f64 v[5:6], v[39:40], v[43:44]
	v_mul_f64 v[11:12], v[37:38], v[43:44]
	v_fma_f64 v[35:36], v[23:24], v[27:28], -v[49:50]
	v_fma_f64 v[43:44], v[25:26], v[27:28], v[29:30]
	v_add_f64 v[45:46], v[0:1], v[31:32]
	v_add_f64 v[47:48], v[2:3], v[33:34]
	ds_load_b128 v[0:3], v4 offset:2048
	ds_load_b128 v[23:26], v7 offset:64
	;; [unrolled: 1-line block ×4, first 2 shown]
	v_fma_f64 v[5:6], v[37:38], v[41:42], -v[5:6]
	v_fma_f64 v[11:12], v[39:40], v[41:42], v[11:12]
	s_waitcnt lgkmcnt(2)
	v_mul_f64 v[49:50], v[2:3], v[25:26]
	v_mul_f64 v[25:26], v[0:1], v[25:26]
	s_waitcnt lgkmcnt(0)
	v_mul_f64 v[41:42], v[29:30], v[33:34]
	v_add_f64 v[35:36], v[45:46], v[35:36]
	v_add_f64 v[37:38], v[47:48], v[43:44]
	v_mul_f64 v[43:44], v[27:28], v[33:34]
	v_fma_f64 v[45:46], v[0:1], v[23:24], -v[49:50]
	v_fma_f64 v[47:48], v[2:3], v[23:24], v[25:26]
	v_fma_f64 v[27:28], v[27:28], v[31:32], -v[41:42]
	v_add_f64 v[5:6], v[35:36], v[5:6]
	v_add_f64 v[11:12], v[37:38], v[11:12]
	ds_load_b128 v[0:3], v4 offset:3072
	ds_load_b128 v[23:26], v7 offset:96
	;; [unrolled: 1-line block ×4, first 2 shown]
	v_fma_f64 v[29:30], v[29:30], v[31:32], v[43:44]
	v_add_nc_u32_e32 v4, 0x1000, v4
	s_waitcnt lgkmcnt(2)
	v_mul_f64 v[49:50], v[2:3], v[25:26]
	v_mul_f64 v[25:26], v[0:1], v[25:26]
	s_waitcnt lgkmcnt(0)
	v_mul_f64 v[31:32], v[35:36], v[39:40]
	v_mul_f64 v[39:40], v[33:34], v[39:40]
	v_add_f64 v[5:6], v[5:6], v[45:46]
	v_add_f64 v[11:12], v[11:12], v[47:48]
	v_fma_f64 v[0:1], v[0:1], v[23:24], -v[49:50]
	v_fma_f64 v[2:3], v[2:3], v[23:24], v[25:26]
	v_fma_f64 v[23:24], v[33:34], v[37:38], -v[31:32]
	v_fma_f64 v[25:26], v[35:36], v[37:38], v[39:40]
	v_add_f64 v[5:6], v[5:6], v[27:28]
	v_add_f64 v[11:12], v[11:12], v[29:30]
	s_delay_alu instid0(VALU_DEP_2) | instskip(NEXT) | instid1(VALU_DEP_2)
	v_add_f64 v[0:1], v[5:6], v[0:1]
	v_add_f64 v[2:3], v[11:12], v[2:3]
	s_delay_alu instid0(VALU_DEP_2) | instskip(NEXT) | instid1(VALU_DEP_2)
	v_add_f64 v[0:1], v[0:1], v[23:24]
	v_add_f64 v[2:3], v[2:3], v[25:26]
	s_cbranch_scc0 .LBB19_13
; %bb.14:                               ;   in Loop: Header=BB19_7 Depth=2
	global_load_b128 v[4:7], v[9:10], off
	v_mul_f64 v[11:12], s[38:39], v[2:3]
	v_mul_f64 v[23:24], s[38:39], v[0:1]
	s_delay_alu instid0(VALU_DEP_2) | instskip(NEXT) | instid1(VALU_DEP_2)
	v_fma_f64 v[0:1], s[36:37], v[0:1], -v[11:12]
	v_fma_f64 v[2:3], s[36:37], v[2:3], v[23:24]
	s_waitcnt vmcnt(0)
	s_delay_alu instid0(VALU_DEP_2) | instskip(NEXT) | instid1(VALU_DEP_2)
	v_add_f64 v[0:1], v[0:1], v[4:5]
	v_add_f64 v[2:3], v[2:3], v[6:7]
	global_store_b128 v[9:10], v[0:3], off
	s_branch .LBB19_6
.LBB19_15:
	s_endpgm
	.section	.rodata,"a",@progbits
	.p2align	6, 0x0
	.amdhsa_kernel _ZL24rocblas_symm_hemm_kernelILb0ELb0ELi32EPK19rocblas_complex_numIdES3_PS1_EvbiiT2_T3_lllS6_lllT4_llli
		.amdhsa_group_segment_fixed_size 32768
		.amdhsa_private_segment_fixed_size 0
		.amdhsa_kernarg_size 384
		.amdhsa_user_sgpr_count 13
		.amdhsa_user_sgpr_dispatch_ptr 0
		.amdhsa_user_sgpr_queue_ptr 0
		.amdhsa_user_sgpr_kernarg_segment_ptr 1
		.amdhsa_user_sgpr_dispatch_id 0
		.amdhsa_user_sgpr_private_segment_size 0
		.amdhsa_wavefront_size32 1
		.amdhsa_uses_dynamic_stack 0
		.amdhsa_enable_private_segment 0
		.amdhsa_system_sgpr_workgroup_id_x 1
		.amdhsa_system_sgpr_workgroup_id_y 1
		.amdhsa_system_sgpr_workgroup_id_z 1
		.amdhsa_system_sgpr_workgroup_info 0
		.amdhsa_system_vgpr_workitem_id 1
		.amdhsa_next_free_vgpr 51
		.amdhsa_next_free_sgpr 44
		.amdhsa_reserve_vcc 1
		.amdhsa_float_round_mode_32 0
		.amdhsa_float_round_mode_16_64 0
		.amdhsa_float_denorm_mode_32 3
		.amdhsa_float_denorm_mode_16_64 3
		.amdhsa_dx10_clamp 1
		.amdhsa_ieee_mode 1
		.amdhsa_fp16_overflow 0
		.amdhsa_workgroup_processor_mode 1
		.amdhsa_memory_ordered 1
		.amdhsa_forward_progress 0
		.amdhsa_shared_vgpr_count 0
		.amdhsa_exception_fp_ieee_invalid_op 0
		.amdhsa_exception_fp_denorm_src 0
		.amdhsa_exception_fp_ieee_div_zero 0
		.amdhsa_exception_fp_ieee_overflow 0
		.amdhsa_exception_fp_ieee_underflow 0
		.amdhsa_exception_fp_ieee_inexact 0
		.amdhsa_exception_int_div_zero 0
	.end_amdhsa_kernel
	.section	.text._ZL24rocblas_symm_hemm_kernelILb0ELb0ELi32EPK19rocblas_complex_numIdES3_PS1_EvbiiT2_T3_lllS6_lllT4_llli,"axG",@progbits,_ZL24rocblas_symm_hemm_kernelILb0ELb0ELi32EPK19rocblas_complex_numIdES3_PS1_EvbiiT2_T3_lllS6_lllT4_llli,comdat
.Lfunc_end19:
	.size	_ZL24rocblas_symm_hemm_kernelILb0ELb0ELi32EPK19rocblas_complex_numIdES3_PS1_EvbiiT2_T3_lllS6_lllT4_llli, .Lfunc_end19-_ZL24rocblas_symm_hemm_kernelILb0ELb0ELi32EPK19rocblas_complex_numIdES3_PS1_EvbiiT2_T3_lllS6_lllT4_llli
                                        ; -- End function
	.section	.AMDGPU.csdata,"",@progbits
; Kernel info:
; codeLenInByte = 1616
; NumSgprs: 46
; NumVgprs: 51
; ScratchSize: 0
; MemoryBound: 1
; FloatMode: 240
; IeeeMode: 1
; LDSByteSize: 32768 bytes/workgroup (compile time only)
; SGPRBlocks: 5
; VGPRBlocks: 6
; NumSGPRsForWavesPerEU: 46
; NumVGPRsForWavesPerEU: 51
; Occupancy: 16
; WaveLimiterHint : 0
; COMPUTE_PGM_RSRC2:SCRATCH_EN: 0
; COMPUTE_PGM_RSRC2:USER_SGPR: 13
; COMPUTE_PGM_RSRC2:TRAP_HANDLER: 0
; COMPUTE_PGM_RSRC2:TGID_X_EN: 1
; COMPUTE_PGM_RSRC2:TGID_Y_EN: 1
; COMPUTE_PGM_RSRC2:TGID_Z_EN: 1
; COMPUTE_PGM_RSRC2:TIDIG_COMP_CNT: 1
	.section	.text._ZL24rocblas_symm_hemm_kernelILb0ELb1ELi32EPK19rocblas_complex_numIdES3_PS1_EvbiiT2_T3_lllS6_lllT4_llli,"axG",@progbits,_ZL24rocblas_symm_hemm_kernelILb0ELb1ELi32EPK19rocblas_complex_numIdES3_PS1_EvbiiT2_T3_lllS6_lllT4_llli,comdat
	.globl	_ZL24rocblas_symm_hemm_kernelILb0ELb1ELi32EPK19rocblas_complex_numIdES3_PS1_EvbiiT2_T3_lllS6_lllT4_llli ; -- Begin function _ZL24rocblas_symm_hemm_kernelILb0ELb1ELi32EPK19rocblas_complex_numIdES3_PS1_EvbiiT2_T3_lllS6_lllT4_llli
	.p2align	8
	.type	_ZL24rocblas_symm_hemm_kernelILb0ELb1ELi32EPK19rocblas_complex_numIdES3_PS1_EvbiiT2_T3_lllS6_lllT4_llli,@function
_ZL24rocblas_symm_hemm_kernelILb0ELb1ELi32EPK19rocblas_complex_numIdES3_PS1_EvbiiT2_T3_lllS6_lllT4_llli: ; @_ZL24rocblas_symm_hemm_kernelILb0ELb1ELi32EPK19rocblas_complex_numIdES3_PS1_EvbiiT2_T3_lllS6_lllT4_llli
; %bb.0:
	s_load_b512 s[16:31], s[0:1], 0x10
	s_waitcnt lgkmcnt(0)
	s_load_b128 s[36:39], s[16:17], 0x0
	s_waitcnt lgkmcnt(0)
	v_cmp_eq_f64_e64 s2, s[36:37], 0
	v_cmp_eq_f64_e64 s3, s[38:39], 0
	s_delay_alu instid0(VALU_DEP_1) | instskip(NEXT) | instid1(SALU_CYCLE_1)
	s_and_b32 s2, s2, s3
	s_and_b32 vcc_lo, exec_lo, s2
	s_cbranch_vccnz .LBB20_15
; %bb.1:
	s_load_b128 s[40:43], s[0:1], 0x0
	s_waitcnt lgkmcnt(0)
	s_add_i32 s2, s42, -1
	s_delay_alu instid0(SALU_CYCLE_1) | instskip(NEXT) | instid1(SALU_CYCLE_1)
	s_ashr_i32 s3, s2, 31
	s_lshr_b32 s3, s3, 27
	s_delay_alu instid0(SALU_CYCLE_1) | instskip(NEXT) | instid1(SALU_CYCLE_1)
	s_add_i32 s2, s2, s3
	s_ashr_i32 s3, s2, 5
	s_delay_alu instid0(SALU_CYCLE_1)
	s_cmp_gt_i32 s14, s3
	s_cbranch_scc1 .LBB20_15
; %bb.2:
	s_clause 0x1
	s_load_b64 s[34:35], s[0:1], 0x70
	s_load_b256 s[4:11], s[0:1], 0x50
	s_mul_i32 s2, s15, s25
	s_mul_hi_u32 s12, s15, s24
	s_mul_i32 s16, s15, s24
	s_add_i32 s17, s12, s2
	s_load_b32 s12, s[0:1], 0x84
	s_lshl_b64 s[16:17], s[16:17], 4
	v_and_b32_e32 v12, 0x3ff, v0
	s_add_u32 s2, s18, s16
	s_addc_u32 s18, s19, s17
	s_lshl_b64 s[16:17], s[20:21], 4
	v_bfe_u32 v13, v0, 10, 10
	s_add_u32 s16, s2, s16
	s_addc_u32 s17, s18, s17
	s_bitcmp1_b32 s40, 0
	v_lshl_add_u32 v1, s13, 5, v12
	s_cselect_b32 s0, -1, 0
	v_lshlrev_b32_e32 v0, 4, v13
	v_lshlrev_b32_e32 v14, 9, v12
	s_waitcnt lgkmcnt(0)
	s_mul_i32 s1, s15, s35
	s_mul_hi_u32 s2, s15, s34
	s_mul_i32 s18, s15, s34
	s_add_i32 s19, s2, s1
	s_mul_i32 s1, s15, s5
	s_lshl_b64 s[18:19], s[18:19], 4
	s_mul_hi_u32 s2, s15, s4
	s_add_u32 s5, s6, s18
	s_addc_u32 s13, s7, s19
	s_lshl_b64 s[6:7], s[8:9], 4
	v_ashrrev_i32_e32 v2, 31, v1
	s_add_u32 s6, s5, s6
	s_mul_i32 s4, s15, s4
	s_addc_u32 s7, s13, s7
	s_add_i32 s5, s2, s1
	v_lshlrev_b64 v[2:3], 4, v[1:2]
	s_lshl_b64 s[4:5], s[4:5], 4
	v_or_b32_e32 v15, 0x4000, v0
	s_add_u32 s1, s26, s4
	s_addc_u32 s2, s27, s5
	s_lshl_b64 s[4:5], s[28:29], 4
	v_add_nc_u32_e32 v18, v14, v0
	s_add_u32 s4, s1, s4
	s_addc_u32 s2, s2, s5
	v_add_co_u32 v16, vcc_lo, s4, v2
	v_add_co_ci_u32_e32 v17, vcc_lo, s2, v3, vcc_lo
	v_add_co_u32 v20, vcc_lo, s6, v2
	v_cmp_gt_i32_e64 s1, s41, v1
	v_add_nc_u32_e32 v19, v15, v14
	v_add_co_ci_u32_e32 v21, vcc_lo, s7, v3, vcc_lo
	s_cmp_gt_i32 s42, 0
	s_cselect_b32 s4, -1, 0
	s_branch .LBB20_4
.LBB20_3:                               ;   in Loop: Header=BB20_4 Depth=1
	s_add_i32 s14, s14, s12
	s_delay_alu instid0(SALU_CYCLE_1)
	s_cmp_gt_i32 s14, s3
	s_cbranch_scc1 .LBB20_15
.LBB20_4:                               ; =>This Loop Header: Depth=1
                                        ;     Child Loop BB20_7 Depth 2
                                        ;       Child Loop BB20_13 Depth 3
	s_and_not1_b32 vcc_lo, exec_lo, s4
	s_cbranch_vccnz .LBB20_3
; %bb.5:                                ;   in Loop: Header=BB20_4 Depth=1
	v_lshl_add_u32 v22, s14, 5, v13
	s_mov_b32 s5, 0
	s_delay_alu instid0(VALU_DEP_1) | instskip(SKIP_3) | instid1(VALU_DEP_4)
	v_ashrrev_i32_e32 v2, 31, v22
	v_mul_lo_u32 v3, v22, s11
	v_mad_u64_u32 v[0:1], null, v22, s10, 0
	v_cmp_gt_i32_e32 vcc_lo, s42, v22
	v_mul_lo_u32 v2, v2, s10
	s_delay_alu instid0(VALU_DEP_1) | instskip(NEXT) | instid1(VALU_DEP_1)
	v_add3_u32 v1, v1, v3, v2
	v_lshlrev_b64 v[0:1], 4, v[0:1]
	s_delay_alu instid0(VALU_DEP_1) | instskip(NEXT) | instid1(VALU_DEP_1)
	v_add_co_u32 v8, s2, v20, v0
	v_add_co_ci_u32_e64 v9, s2, v21, v1, s2
	s_and_b32 s2, s1, vcc_lo
	s_branch .LBB20_7
.LBB20_6:                               ;   in Loop: Header=BB20_7 Depth=2
	s_or_b32 exec_lo, exec_lo, s6
	s_add_i32 s5, s5, 32
	s_waitcnt_vscnt null, 0x0
	s_cmp_ge_i32 s5, s42
	s_barrier
	buffer_gl0_inv
	s_cbranch_scc1 .LBB20_3
.LBB20_7:                               ;   Parent Loop BB20_4 Depth=1
                                        ; =>  This Loop Header: Depth=2
                                        ;       Child Loop BB20_13 Depth 3
	v_add_nc_u32_e32 v2, s5, v13
	v_mov_b32_e32 v0, 0
	v_mov_b32_e32 v1, 0
	s_delay_alu instid0(VALU_DEP_3) | instskip(NEXT) | instid1(VALU_DEP_2)
	v_cmp_gt_i32_e32 vcc_lo, s42, v2
	v_dual_mov_b32 v5, v1 :: v_dual_mov_b32 v4, v0
	v_dual_mov_b32 v7, v1 :: v_dual_mov_b32 v6, v0
	s_and_b32 s7, s1, vcc_lo
	s_delay_alu instid0(SALU_CYCLE_1)
	s_and_saveexec_b32 s6, s7
	s_cbranch_execz .LBB20_9
; %bb.8:                                ;   in Loop: Header=BB20_7 Depth=2
	v_ashrrev_i32_e32 v5, 31, v2
	v_mul_lo_u32 v6, v2, s31
	v_mad_u64_u32 v[3:4], null, v2, s30, 0
	s_delay_alu instid0(VALU_DEP_3) | instskip(NEXT) | instid1(VALU_DEP_1)
	v_mul_lo_u32 v2, v5, s30
	v_add3_u32 v4, v4, v6, v2
	s_delay_alu instid0(VALU_DEP_1) | instskip(NEXT) | instid1(VALU_DEP_1)
	v_lshlrev_b64 v[2:3], 4, v[3:4]
	v_add_co_u32 v2, vcc_lo, v16, v2
	s_delay_alu instid0(VALU_DEP_2)
	v_add_co_ci_u32_e32 v3, vcc_lo, v17, v3, vcc_lo
	global_load_b128 v[4:7], v[2:3], off
.LBB20_9:                               ;   in Loop: Header=BB20_7 Depth=2
	s_or_b32 exec_lo, exec_lo, s6
	v_add_nc_u32_e32 v2, s5, v12
	s_waitcnt vmcnt(0)
	ds_store_b128 v18, v[4:7]
	v_cndmask_b32_e64 v3, v22, v2, s0
	v_cndmask_b32_e64 v10, v2, v22, s0
	s_delay_alu instid0(VALU_DEP_1) | instskip(SKIP_2) | instid1(VALU_DEP_1)
	v_cmp_gt_i32_e32 vcc_lo, v3, v10
	v_cndmask_b32_e32 v10, v2, v22, vcc_lo
	v_cndmask_b32_e32 v11, v22, v2, vcc_lo
	v_max_i32_e32 v2, v10, v11
	s_delay_alu instid0(VALU_DEP_1)
	v_cmp_gt_i32_e32 vcc_lo, s42, v2
	v_dual_mov_b32 v3, v1 :: v_dual_mov_b32 v2, v0
	s_and_saveexec_b32 s6, vcc_lo
	s_cbranch_execz .LBB20_11
; %bb.10:                               ;   in Loop: Header=BB20_7 Depth=2
	v_ashrrev_i32_e32 v2, 31, v11
	v_mul_lo_u32 v3, v11, s23
	v_mad_u64_u32 v[0:1], null, v11, s22, 0
	v_ashrrev_i32_e32 v11, 31, v10
	s_delay_alu instid0(VALU_DEP_4) | instskip(NEXT) | instid1(VALU_DEP_1)
	v_mul_lo_u32 v2, v2, s22
	v_add3_u32 v1, v1, v3, v2
	s_delay_alu instid0(VALU_DEP_3) | instskip(NEXT) | instid1(VALU_DEP_2)
	v_lshlrev_b64 v[2:3], 4, v[10:11]
	v_lshlrev_b64 v[0:1], 4, v[0:1]
	s_delay_alu instid0(VALU_DEP_1) | instskip(NEXT) | instid1(VALU_DEP_2)
	v_add_co_u32 v0, vcc_lo, s16, v0
	v_add_co_ci_u32_e32 v1, vcc_lo, s17, v1, vcc_lo
	s_delay_alu instid0(VALU_DEP_2) | instskip(NEXT) | instid1(VALU_DEP_2)
	v_add_co_u32 v0, vcc_lo, v0, v2
	v_add_co_ci_u32_e32 v1, vcc_lo, v1, v3, vcc_lo
	global_load_b128 v[0:3], v[0:1], off
.LBB20_11:                              ;   in Loop: Header=BB20_7 Depth=2
	s_or_b32 exec_lo, exec_lo, s6
	s_waitcnt vmcnt(0)
	ds_store_b128 v19, v[0:3]
	s_waitcnt lgkmcnt(0)
	s_barrier
	buffer_gl0_inv
	s_and_saveexec_b32 s6, s2
	s_cbranch_execz .LBB20_6
; %bb.12:                               ;   in Loop: Header=BB20_7 Depth=2
	v_mov_b32_e32 v0, 0
	v_dual_mov_b32 v1, 0 :: v_dual_mov_b32 v4, v15
	s_mov_b32 s7, 0
	s_delay_alu instid0(VALU_DEP_1)
	v_dual_mov_b32 v3, v1 :: v_dual_mov_b32 v2, v0
.LBB20_13:                              ;   Parent Loop BB20_4 Depth=1
                                        ;     Parent Loop BB20_7 Depth=2
                                        ; =>    This Inner Loop Header: Depth=3
	v_add_nc_u32_e32 v7, s7, v14
	s_addk_i32 s7, 0x80
	ds_load_b128 v[23:26], v4
	ds_load_b128 v[27:30], v7
	ds_load_b128 v[31:34], v4 offset:512
	ds_load_b128 v[35:38], v7 offset:16
	s_cmpk_eq_i32 s7, 0x200
	s_waitcnt lgkmcnt(2)
	v_mul_f64 v[5:6], v[25:26], v[29:30]
	v_mul_f64 v[10:11], v[23:24], v[29:30]
	s_waitcnt lgkmcnt(0)
	v_mul_f64 v[45:46], v[33:34], v[37:38]
	v_mul_f64 v[47:48], v[31:32], v[37:38]
	s_delay_alu instid0(VALU_DEP_4) | instskip(NEXT) | instid1(VALU_DEP_4)
	v_fma_f64 v[5:6], v[23:24], v[27:28], -v[5:6]
	v_fma_f64 v[10:11], v[25:26], v[27:28], v[10:11]
	ds_load_b128 v[23:26], v4 offset:1024
	ds_load_b128 v[27:30], v7 offset:32
	ds_load_b128 v[37:40], v4 offset:1536
	ds_load_b128 v[41:44], v7 offset:48
	v_fma_f64 v[31:32], v[31:32], v[35:36], -v[45:46]
	v_fma_f64 v[33:34], v[33:34], v[35:36], v[47:48]
	s_waitcnt lgkmcnt(2)
	v_mul_f64 v[49:50], v[25:26], v[29:30]
	v_mul_f64 v[29:30], v[23:24], v[29:30]
	v_add_f64 v[0:1], v[0:1], v[5:6]
	v_add_f64 v[2:3], v[2:3], v[10:11]
	s_waitcnt lgkmcnt(0)
	v_mul_f64 v[5:6], v[39:40], v[43:44]
	v_mul_f64 v[10:11], v[37:38], v[43:44]
	v_fma_f64 v[35:36], v[23:24], v[27:28], -v[49:50]
	v_fma_f64 v[43:44], v[25:26], v[27:28], v[29:30]
	v_add_f64 v[45:46], v[0:1], v[31:32]
	v_add_f64 v[47:48], v[2:3], v[33:34]
	ds_load_b128 v[0:3], v4 offset:2048
	ds_load_b128 v[23:26], v7 offset:64
	ds_load_b128 v[27:30], v4 offset:2560
	ds_load_b128 v[31:34], v7 offset:80
	v_fma_f64 v[5:6], v[37:38], v[41:42], -v[5:6]
	v_fma_f64 v[10:11], v[39:40], v[41:42], v[10:11]
	s_waitcnt lgkmcnt(2)
	v_mul_f64 v[49:50], v[2:3], v[25:26]
	v_mul_f64 v[25:26], v[0:1], v[25:26]
	s_waitcnt lgkmcnt(0)
	v_mul_f64 v[41:42], v[29:30], v[33:34]
	v_add_f64 v[35:36], v[45:46], v[35:36]
	v_add_f64 v[37:38], v[47:48], v[43:44]
	v_mul_f64 v[43:44], v[27:28], v[33:34]
	v_fma_f64 v[45:46], v[0:1], v[23:24], -v[49:50]
	v_fma_f64 v[47:48], v[2:3], v[23:24], v[25:26]
	v_fma_f64 v[27:28], v[27:28], v[31:32], -v[41:42]
	v_add_f64 v[5:6], v[35:36], v[5:6]
	v_add_f64 v[10:11], v[37:38], v[10:11]
	ds_load_b128 v[0:3], v4 offset:3072
	ds_load_b128 v[23:26], v7 offset:96
	;; [unrolled: 1-line block ×4, first 2 shown]
	v_fma_f64 v[29:30], v[29:30], v[31:32], v[43:44]
	v_add_nc_u32_e32 v4, 0x1000, v4
	s_waitcnt lgkmcnt(2)
	v_mul_f64 v[49:50], v[2:3], v[25:26]
	v_mul_f64 v[25:26], v[0:1], v[25:26]
	s_waitcnt lgkmcnt(0)
	v_mul_f64 v[31:32], v[35:36], v[39:40]
	v_mul_f64 v[39:40], v[33:34], v[39:40]
	v_add_f64 v[5:6], v[5:6], v[45:46]
	v_add_f64 v[10:11], v[10:11], v[47:48]
	v_fma_f64 v[0:1], v[0:1], v[23:24], -v[49:50]
	v_fma_f64 v[2:3], v[2:3], v[23:24], v[25:26]
	v_fma_f64 v[23:24], v[33:34], v[37:38], -v[31:32]
	v_fma_f64 v[25:26], v[35:36], v[37:38], v[39:40]
	v_add_f64 v[5:6], v[5:6], v[27:28]
	v_add_f64 v[10:11], v[10:11], v[29:30]
	s_delay_alu instid0(VALU_DEP_2) | instskip(NEXT) | instid1(VALU_DEP_2)
	v_add_f64 v[0:1], v[5:6], v[0:1]
	v_add_f64 v[2:3], v[10:11], v[2:3]
	s_delay_alu instid0(VALU_DEP_2) | instskip(NEXT) | instid1(VALU_DEP_2)
	v_add_f64 v[0:1], v[0:1], v[23:24]
	v_add_f64 v[2:3], v[2:3], v[25:26]
	s_cbranch_scc0 .LBB20_13
; %bb.14:                               ;   in Loop: Header=BB20_7 Depth=2
	global_load_b128 v[4:7], v[8:9], off
	v_mul_f64 v[10:11], s[38:39], v[2:3]
	v_mul_f64 v[23:24], s[38:39], v[0:1]
	s_delay_alu instid0(VALU_DEP_2) | instskip(NEXT) | instid1(VALU_DEP_2)
	v_fma_f64 v[0:1], s[36:37], v[0:1], -v[10:11]
	v_fma_f64 v[2:3], s[36:37], v[2:3], v[23:24]
	s_waitcnt vmcnt(0)
	s_delay_alu instid0(VALU_DEP_2) | instskip(NEXT) | instid1(VALU_DEP_2)
	v_add_f64 v[0:1], v[0:1], v[4:5]
	v_add_f64 v[2:3], v[2:3], v[6:7]
	global_store_b128 v[8:9], v[0:3], off
	s_branch .LBB20_6
.LBB20_15:
	s_endpgm
	.section	.rodata,"a",@progbits
	.p2align	6, 0x0
	.amdhsa_kernel _ZL24rocblas_symm_hemm_kernelILb0ELb1ELi32EPK19rocblas_complex_numIdES3_PS1_EvbiiT2_T3_lllS6_lllT4_llli
		.amdhsa_group_segment_fixed_size 32768
		.amdhsa_private_segment_fixed_size 0
		.amdhsa_kernarg_size 384
		.amdhsa_user_sgpr_count 13
		.amdhsa_user_sgpr_dispatch_ptr 0
		.amdhsa_user_sgpr_queue_ptr 0
		.amdhsa_user_sgpr_kernarg_segment_ptr 1
		.amdhsa_user_sgpr_dispatch_id 0
		.amdhsa_user_sgpr_private_segment_size 0
		.amdhsa_wavefront_size32 1
		.amdhsa_uses_dynamic_stack 0
		.amdhsa_enable_private_segment 0
		.amdhsa_system_sgpr_workgroup_id_x 1
		.amdhsa_system_sgpr_workgroup_id_y 1
		.amdhsa_system_sgpr_workgroup_id_z 1
		.amdhsa_system_sgpr_workgroup_info 0
		.amdhsa_system_vgpr_workitem_id 1
		.amdhsa_next_free_vgpr 51
		.amdhsa_next_free_sgpr 44
		.amdhsa_reserve_vcc 1
		.amdhsa_float_round_mode_32 0
		.amdhsa_float_round_mode_16_64 0
		.amdhsa_float_denorm_mode_32 3
		.amdhsa_float_denorm_mode_16_64 3
		.amdhsa_dx10_clamp 1
		.amdhsa_ieee_mode 1
		.amdhsa_fp16_overflow 0
		.amdhsa_workgroup_processor_mode 1
		.amdhsa_memory_ordered 1
		.amdhsa_forward_progress 0
		.amdhsa_shared_vgpr_count 0
		.amdhsa_exception_fp_ieee_invalid_op 0
		.amdhsa_exception_fp_denorm_src 0
		.amdhsa_exception_fp_ieee_div_zero 0
		.amdhsa_exception_fp_ieee_overflow 0
		.amdhsa_exception_fp_ieee_underflow 0
		.amdhsa_exception_fp_ieee_inexact 0
		.amdhsa_exception_int_div_zero 0
	.end_amdhsa_kernel
	.section	.text._ZL24rocblas_symm_hemm_kernelILb0ELb1ELi32EPK19rocblas_complex_numIdES3_PS1_EvbiiT2_T3_lllS6_lllT4_llli,"axG",@progbits,_ZL24rocblas_symm_hemm_kernelILb0ELb1ELi32EPK19rocblas_complex_numIdES3_PS1_EvbiiT2_T3_lllS6_lllT4_llli,comdat
.Lfunc_end20:
	.size	_ZL24rocblas_symm_hemm_kernelILb0ELb1ELi32EPK19rocblas_complex_numIdES3_PS1_EvbiiT2_T3_lllS6_lllT4_llli, .Lfunc_end20-_ZL24rocblas_symm_hemm_kernelILb0ELb1ELi32EPK19rocblas_complex_numIdES3_PS1_EvbiiT2_T3_lllS6_lllT4_llli
                                        ; -- End function
	.section	.AMDGPU.csdata,"",@progbits
; Kernel info:
; codeLenInByte = 1568
; NumSgprs: 46
; NumVgprs: 51
; ScratchSize: 0
; MemoryBound: 1
; FloatMode: 240
; IeeeMode: 1
; LDSByteSize: 32768 bytes/workgroup (compile time only)
; SGPRBlocks: 5
; VGPRBlocks: 6
; NumSGPRsForWavesPerEU: 46
; NumVGPRsForWavesPerEU: 51
; Occupancy: 16
; WaveLimiterHint : 0
; COMPUTE_PGM_RSRC2:SCRATCH_EN: 0
; COMPUTE_PGM_RSRC2:USER_SGPR: 13
; COMPUTE_PGM_RSRC2:TRAP_HANDLER: 0
; COMPUTE_PGM_RSRC2:TGID_X_EN: 1
; COMPUTE_PGM_RSRC2:TGID_Y_EN: 1
; COMPUTE_PGM_RSRC2:TGID_Z_EN: 1
; COMPUTE_PGM_RSRC2:TIDIG_COMP_CNT: 1
	.section	.text._ZL25rocblas_symm_scale_kernelILi128ELi8E19rocblas_complex_numIdEPS1_EviiT1_T2_llli,"axG",@progbits,_ZL25rocblas_symm_scale_kernelILi128ELi8E19rocblas_complex_numIdEPS1_EviiT1_T2_llli,comdat
	.globl	_ZL25rocblas_symm_scale_kernelILi128ELi8E19rocblas_complex_numIdEPS1_EviiT1_T2_llli ; -- Begin function _ZL25rocblas_symm_scale_kernelILi128ELi8E19rocblas_complex_numIdEPS1_EviiT1_T2_llli
	.p2align	8
	.type	_ZL25rocblas_symm_scale_kernelILi128ELi8E19rocblas_complex_numIdEPS1_EviiT1_T2_llli,@function
_ZL25rocblas_symm_scale_kernelILi128ELi8E19rocblas_complex_numIdEPS1_EviiT1_T2_llli: ; @_ZL25rocblas_symm_scale_kernelILi128ELi8E19rocblas_complex_numIdEPS1_EviiT1_T2_llli
; %bb.0:
	s_load_b256 s[4:11], s[0:1], 0x8
	s_waitcnt lgkmcnt(0)
	v_cmp_eq_f64_e64 s2, s[4:5], 1.0
	v_cmp_eq_f64_e64 s3, s[6:7], 0
	s_delay_alu instid0(VALU_DEP_1) | instskip(NEXT) | instid1(SALU_CYCLE_1)
	s_and_b32 s2, s2, s3
	s_and_b32 vcc_lo, exec_lo, s2
	s_cbranch_vccnz .LBB21_6
; %bb.1:
	s_load_b64 s[2:3], s[0:1], 0x0
	v_bfe_u32 v1, v0, 10, 10
	v_dual_mov_b32 v5, 0 :: v_dual_and_b32 v0, 0x3ff, v0
	s_delay_alu instid0(VALU_DEP_2) | instskip(NEXT) | instid1(VALU_DEP_2)
	v_lshl_add_u32 v4, s14, 3, v1
	v_lshl_add_u32 v0, s13, 7, v0
	s_waitcnt lgkmcnt(0)
	s_ashr_i32 s13, s3, 31
	s_mov_b32 s12, s3
	s_delay_alu instid0(VALU_DEP_1) | instskip(SKIP_1) | instid1(VALU_DEP_2)
	v_cmp_gt_u32_e64 s2, s2, v0
	v_cmp_gt_i64_e32 vcc_lo, s[12:13], v[4:5]
	s_and_b32 s2, s2, vcc_lo
	s_delay_alu instid0(SALU_CYCLE_1)
	s_and_saveexec_b32 s3, s2
	s_cbranch_execz .LBB21_6
; %bb.2:
	s_load_b128 s[16:19], s[0:1], 0x28
	v_cmp_neq_f64_e64 s20, s[4:5], 0
	v_cmp_neq_f64_e64 s21, s[6:7], 0
	s_load_b32 s0, s[0:1], 0x44
	s_lshl_b64 s[2:3], s[10:11], 4
	s_waitcnt lgkmcnt(0)
	v_mad_u64_u32 v[2:3], null, s16, v4, 0
	s_mul_hi_u32 s11, s18, s15
	s_lshl_b32 s1, s0, 3
	s_mul_i32 s0, s19, s15
	s_mul_i32 s10, s18, s15
	s_add_i32 s11, s11, s0
	s_delay_alu instid0(SALU_CYCLE_1) | instskip(NEXT) | instid1(VALU_DEP_1)
	s_lshl_b64 s[14:15], s[10:11], 4
	v_mov_b32_e32 v1, v3
	s_delay_alu instid0(VALU_DEP_1) | instskip(SKIP_3) | instid1(VALU_DEP_2)
	v_mad_u64_u32 v[6:7], null, s17, v4, v[1:2]
	v_mov_b32_e32 v1, v5
	s_or_b32 s10, s20, s21
	s_add_u32 s0, s2, s14
	v_mov_b32_e32 v3, v6
	s_delay_alu instid0(VALU_DEP_2) | instskip(SKIP_1) | instid1(VALU_DEP_2)
	v_lshlrev_b64 v[0:1], 4, v[0:1]
	s_addc_u32 s2, s3, s15
	v_lshlrev_b64 v[2:3], 4, v[2:3]
	s_delay_alu instid0(VALU_DEP_1) | instskip(NEXT) | instid1(VALU_DEP_2)
	v_add_co_u32 v2, vcc_lo, s0, v2
	v_add_co_ci_u32_e32 v3, vcc_lo, s2, v3, vcc_lo
	s_mul_i32 s0, s17, s1
	s_delay_alu instid0(VALU_DEP_2) | instskip(NEXT) | instid1(VALU_DEP_2)
	v_add_co_u32 v0, vcc_lo, v2, v0
	v_add_co_ci_u32_e32 v1, vcc_lo, v3, v1, vcc_lo
	s_mul_hi_u32 s2, s16, s1
	s_delay_alu instid0(VALU_DEP_2) | instskip(NEXT) | instid1(VALU_DEP_2)
	v_add_co_u32 v0, vcc_lo, v0, s8
	v_add_co_ci_u32_e32 v1, vcc_lo, s9, v1, vcc_lo
	s_add_i32 s3, s2, s0
	s_delay_alu instid0(VALU_DEP_2) | instskip(NEXT) | instid1(VALU_DEP_2)
	v_add_co_u32 v6, vcc_lo, v0, 8
	v_add_co_ci_u32_e32 v7, vcc_lo, 0, v1, vcc_lo
	s_mul_i32 s2, s16, s1
	s_mov_b32 s8, 0
	s_lshl_b64 s[2:3], s[2:3], 4
	s_set_inst_prefetch_distance 0x1
	s_branch .LBB21_4
	.p2align	6
.LBB21_3:                               ;   in Loop: Header=BB21_4 Depth=1
	v_add_co_u32 v4, vcc_lo, v4, s1
	v_add_co_ci_u32_e32 v5, vcc_lo, 0, v5, vcc_lo
	global_store_b128 v[6:7], v[0:3], off offset:-8
	v_add_co_u32 v6, s0, v6, s2
	v_cmp_le_i64_e32 vcc_lo, s[12:13], v[4:5]
	v_add_co_ci_u32_e64 v7, s0, s3, v7, s0
	s_or_b32 s8, vcc_lo, s8
	s_delay_alu instid0(SALU_CYCLE_1)
	s_and_not1_b32 exec_lo, exec_lo, s8
	s_cbranch_execz .LBB21_6
.LBB21_4:                               ; =>This Inner Loop Header: Depth=1
	v_mov_b32_e32 v2, 0
	v_mov_b32_e32 v3, 0
	s_delay_alu instid0(VALU_DEP_2) | instskip(SKIP_1) | instid1(VALU_DEP_2)
	v_mov_b32_e32 v0, v2
	s_and_not1_b32 vcc_lo, exec_lo, s10
	v_mov_b32_e32 v1, v3
	s_cbranch_vccnz .LBB21_3
; %bb.5:                                ;   in Loop: Header=BB21_4 Depth=1
	global_load_b128 v[8:11], v[6:7], off offset:-8
	s_waitcnt vmcnt(0)
	v_mul_f64 v[0:1], s[6:7], v[10:11]
	v_mul_f64 v[2:3], s[4:5], v[10:11]
	s_delay_alu instid0(VALU_DEP_2) | instskip(NEXT) | instid1(VALU_DEP_2)
	v_fma_f64 v[0:1], s[4:5], v[8:9], -v[0:1]
	v_fma_f64 v[2:3], s[6:7], v[8:9], v[2:3]
	s_branch .LBB21_3
.LBB21_6:
	s_set_inst_prefetch_distance 0x2
	s_nop 0
	s_sendmsg sendmsg(MSG_DEALLOC_VGPRS)
	s_endpgm
	.section	.rodata,"a",@progbits
	.p2align	6, 0x0
	.amdhsa_kernel _ZL25rocblas_symm_scale_kernelILi128ELi8E19rocblas_complex_numIdEPS1_EviiT1_T2_llli
		.amdhsa_group_segment_fixed_size 0
		.amdhsa_private_segment_fixed_size 0
		.amdhsa_kernarg_size 320
		.amdhsa_user_sgpr_count 13
		.amdhsa_user_sgpr_dispatch_ptr 0
		.amdhsa_user_sgpr_queue_ptr 0
		.amdhsa_user_sgpr_kernarg_segment_ptr 1
		.amdhsa_user_sgpr_dispatch_id 0
		.amdhsa_user_sgpr_private_segment_size 0
		.amdhsa_wavefront_size32 1
		.amdhsa_uses_dynamic_stack 0
		.amdhsa_enable_private_segment 0
		.amdhsa_system_sgpr_workgroup_id_x 1
		.amdhsa_system_sgpr_workgroup_id_y 1
		.amdhsa_system_sgpr_workgroup_id_z 1
		.amdhsa_system_sgpr_workgroup_info 0
		.amdhsa_system_vgpr_workitem_id 1
		.amdhsa_next_free_vgpr 12
		.amdhsa_next_free_sgpr 22
		.amdhsa_reserve_vcc 1
		.amdhsa_float_round_mode_32 0
		.amdhsa_float_round_mode_16_64 0
		.amdhsa_float_denorm_mode_32 3
		.amdhsa_float_denorm_mode_16_64 3
		.amdhsa_dx10_clamp 1
		.amdhsa_ieee_mode 1
		.amdhsa_fp16_overflow 0
		.amdhsa_workgroup_processor_mode 1
		.amdhsa_memory_ordered 1
		.amdhsa_forward_progress 0
		.amdhsa_shared_vgpr_count 0
		.amdhsa_exception_fp_ieee_invalid_op 0
		.amdhsa_exception_fp_denorm_src 0
		.amdhsa_exception_fp_ieee_div_zero 0
		.amdhsa_exception_fp_ieee_overflow 0
		.amdhsa_exception_fp_ieee_underflow 0
		.amdhsa_exception_fp_ieee_inexact 0
		.amdhsa_exception_int_div_zero 0
	.end_amdhsa_kernel
	.section	.text._ZL25rocblas_symm_scale_kernelILi128ELi8E19rocblas_complex_numIdEPS1_EviiT1_T2_llli,"axG",@progbits,_ZL25rocblas_symm_scale_kernelILi128ELi8E19rocblas_complex_numIdEPS1_EviiT1_T2_llli,comdat
.Lfunc_end21:
	.size	_ZL25rocblas_symm_scale_kernelILi128ELi8E19rocblas_complex_numIdEPS1_EviiT1_T2_llli, .Lfunc_end21-_ZL25rocblas_symm_scale_kernelILi128ELi8E19rocblas_complex_numIdEPS1_EviiT1_T2_llli
                                        ; -- End function
	.section	.AMDGPU.csdata,"",@progbits
; Kernel info:
; codeLenInByte = 516
; NumSgprs: 24
; NumVgprs: 12
; ScratchSize: 0
; MemoryBound: 0
; FloatMode: 240
; IeeeMode: 1
; LDSByteSize: 0 bytes/workgroup (compile time only)
; SGPRBlocks: 2
; VGPRBlocks: 1
; NumSGPRsForWavesPerEU: 24
; NumVGPRsForWavesPerEU: 12
; Occupancy: 16
; WaveLimiterHint : 0
; COMPUTE_PGM_RSRC2:SCRATCH_EN: 0
; COMPUTE_PGM_RSRC2:USER_SGPR: 13
; COMPUTE_PGM_RSRC2:TRAP_HANDLER: 0
; COMPUTE_PGM_RSRC2:TGID_X_EN: 1
; COMPUTE_PGM_RSRC2:TGID_Y_EN: 1
; COMPUTE_PGM_RSRC2:TGID_Z_EN: 1
; COMPUTE_PGM_RSRC2:TIDIG_COMP_CNT: 1
	.section	.text._ZL24rocblas_symm_hemm_kernelILb0ELb0ELi32E19rocblas_complex_numIdEPKS1_PS1_EvbiiT2_T3_lllS6_lllT4_llli,"axG",@progbits,_ZL24rocblas_symm_hemm_kernelILb0ELb0ELi32E19rocblas_complex_numIdEPKS1_PS1_EvbiiT2_T3_lllS6_lllT4_llli,comdat
	.globl	_ZL24rocblas_symm_hemm_kernelILb0ELb0ELi32E19rocblas_complex_numIdEPKS1_PS1_EvbiiT2_T3_lllS6_lllT4_llli ; -- Begin function _ZL24rocblas_symm_hemm_kernelILb0ELb0ELi32E19rocblas_complex_numIdEPKS1_PS1_EvbiiT2_T3_lllS6_lllT4_llli
	.p2align	8
	.type	_ZL24rocblas_symm_hemm_kernelILb0ELb0ELi32E19rocblas_complex_numIdEPKS1_PS1_EvbiiT2_T3_lllS6_lllT4_llli,@function
_ZL24rocblas_symm_hemm_kernelILb0ELb0ELi32E19rocblas_complex_numIdEPKS1_PS1_EvbiiT2_T3_lllS6_lllT4_llli: ; @_ZL24rocblas_symm_hemm_kernelILb0ELb0ELi32E19rocblas_complex_numIdEPKS1_PS1_EvbiiT2_T3_lllS6_lllT4_llli
; %bb.0:
	s_load_b512 s[16:31], s[0:1], 0x10
	s_waitcnt lgkmcnt(0)
	v_cmp_eq_f64_e64 s2, s[16:17], 0
	v_cmp_eq_f64_e64 s3, s[18:19], 0
	s_delay_alu instid0(VALU_DEP_1) | instskip(NEXT) | instid1(SALU_CYCLE_1)
	s_and_b32 s2, s2, s3
	s_and_b32 vcc_lo, exec_lo, s2
	s_cbranch_vccnz .LBB22_15
; %bb.1:
	s_load_b128 s[36:39], s[0:1], 0x0
	s_waitcnt lgkmcnt(0)
	s_add_i32 s2, s38, -1
	s_delay_alu instid0(SALU_CYCLE_1) | instskip(NEXT) | instid1(SALU_CYCLE_1)
	s_ashr_i32 s3, s2, 31
	s_lshr_b32 s3, s3, 27
	s_delay_alu instid0(SALU_CYCLE_1) | instskip(NEXT) | instid1(SALU_CYCLE_1)
	s_add_i32 s2, s2, s3
	s_ashr_i32 s3, s2, 5
	s_delay_alu instid0(SALU_CYCLE_1)
	s_cmp_gt_i32 s14, s3
	s_cbranch_scc1 .LBB22_15
; %bb.2:
	s_load_b256 s[4:11], s[0:1], 0x50
	s_mul_i32 s2, s15, s27
	s_mul_hi_u32 s12, s15, s26
	s_load_b128 s[40:43], s[0:1], 0x70
	s_mul_i32 s26, s15, s26
	s_add_i32 s27, s12, s2
	s_load_b32 s12, s[0:1], 0x8c
	v_and_b32_e32 v13, 0x3ff, v0
	s_lshl_b64 s[26:27], s[26:27], 4
	v_bfe_u32 v14, v0, 10, 10
	s_add_u32 s2, s20, s26
	s_addc_u32 s20, s21, s27
	s_lshl_b64 s[0:1], s[22:23], 4
	v_lshl_add_u32 v8, s13, 5, v13
	s_add_u32 s13, s2, s0
	s_addc_u32 s20, s20, s1
	v_lshlrev_b32_e32 v2, 4, v14
	v_lshlrev_b32_e32 v15, 9, v13
	v_ashrrev_i32_e32 v9, 31, v8
	s_waitcnt lgkmcnt(0)
	s_mul_i32 s1, s15, s7
	s_mul_hi_u32 s2, s15, s6
	s_mul_i32 s0, s15, s6
	s_add_i32 s1, s2, s1
	s_mul_i32 s2, s15, s43
	s_lshl_b64 s[0:1], s[0:1], 4
	s_mul_hi_u32 s21, s15, s42
	s_add_u32 s6, s28, s0
	s_addc_u32 s7, s29, s1
	s_lshl_b64 s[0:1], s[30:31], 4
	s_mul_i32 s22, s15, s42
	s_add_u32 s6, s6, s0
	s_addc_u32 s7, s7, s1
	s_bitcmp1_b32 s36, 0
	v_lshlrev_b64 v[0:1], 4, v[8:9]
	s_cselect_b32 s0, -1, 0
	s_add_i32 s23, s21, s2
	v_or_b32_e32 v16, 0x4000, v2
	s_lshl_b64 s[22:23], s[22:23], 4
	v_add_nc_u32_e32 v17, v15, v2
	s_add_u32 s1, s8, s22
	s_addc_u32 s2, s9, s23
	s_lshl_b64 s[8:9], s[10:11], 4
	v_add_nc_u32_e32 v18, v16, v15
	s_add_u32 s8, s1, s8
	s_addc_u32 s2, s2, s9
	v_add_co_u32 v19, vcc_lo, s8, v0
	v_cmp_gt_i32_e64 s1, s37, v8
	v_add_co_ci_u32_e32 v20, vcc_lo, s2, v1, vcc_lo
	s_cmp_gt_i32 s37, 0
	s_cselect_b32 s8, -1, 0
	s_branch .LBB22_4
.LBB22_3:                               ;   in Loop: Header=BB22_4 Depth=1
	s_add_i32 s14, s14, s12
	s_delay_alu instid0(SALU_CYCLE_1)
	s_cmp_gt_i32 s14, s3
	s_cbranch_scc1 .LBB22_15
.LBB22_4:                               ; =>This Loop Header: Depth=1
                                        ;     Child Loop BB22_7 Depth 2
                                        ;       Child Loop BB22_13 Depth 3
	s_and_not1_b32 vcc_lo, exec_lo, s8
	s_cbranch_vccnz .LBB22_3
; %bb.5:                                ;   in Loop: Header=BB22_4 Depth=1
	v_lshl_add_u32 v4, s14, 5, v14
	s_mov_b32 s10, 0
	s_delay_alu instid0(VALU_DEP_1) | instskip(SKIP_3) | instid1(VALU_DEP_4)
	v_ashrrev_i32_e32 v5, 31, v4
	v_mul_lo_u32 v6, v4, s5
	v_mad_u64_u32 v[0:1], null, v4, s4, 0
	v_mul_lo_u32 v9, v4, s41
	v_mul_lo_u32 v7, v5, s4
	v_mad_u64_u32 v[2:3], null, v4, s40, 0
	v_mul_lo_u32 v5, v5, s40
	v_cmp_gt_i32_e32 vcc_lo, s38, v4
	s_delay_alu instid0(VALU_DEP_4) | instskip(SKIP_1) | instid1(VALU_DEP_3)
	v_add3_u32 v1, v1, v6, v7
	s_and_b32 s9, s1, vcc_lo
	v_add3_u32 v3, v3, v9, v5
	s_delay_alu instid0(VALU_DEP_2) | instskip(NEXT) | instid1(VALU_DEP_2)
	v_lshlrev_b64 v[0:1], 4, v[0:1]
	v_lshlrev_b64 v[2:3], 4, v[2:3]
	s_delay_alu instid0(VALU_DEP_2) | instskip(NEXT) | instid1(VALU_DEP_1)
	v_add_co_u32 v21, s2, s6, v0
	v_add_co_ci_u32_e64 v22, s2, s7, v1, s2
	s_delay_alu instid0(VALU_DEP_3) | instskip(NEXT) | instid1(VALU_DEP_1)
	v_add_co_u32 v9, s2, v19, v2
	v_add_co_ci_u32_e64 v10, s2, v20, v3, s2
	s_branch .LBB22_7
.LBB22_6:                               ;   in Loop: Header=BB22_7 Depth=2
	s_or_b32 exec_lo, exec_lo, s2
	s_add_i32 s10, s10, 32
	s_waitcnt_vscnt null, 0x0
	s_cmp_ge_i32 s10, s37
	s_barrier
	buffer_gl0_inv
	s_cbranch_scc1 .LBB22_3
.LBB22_7:                               ;   Parent Loop BB22_4 Depth=1
                                        ; =>  This Loop Header: Depth=2
                                        ;       Child Loop BB22_13 Depth 3
	v_add_nc_u32_e32 v0, s10, v14
	s_delay_alu instid0(VALU_DEP_1) | instskip(SKIP_1) | instid1(VALU_DEP_1)
	v_cndmask_b32_e64 v1, v0, v8, s0
	v_cndmask_b32_e64 v2, v8, v0, s0
	v_cmp_gt_i32_e64 s2, v1, v2
	s_delay_alu instid0(VALU_DEP_1) | instskip(SKIP_3) | instid1(VALU_DEP_3)
	v_cndmask_b32_e64 v2, v8, v0, s2
	v_cndmask_b32_e64 v3, v0, v8, s2
	v_mov_b32_e32 v0, 0
	v_mov_b32_e32 v1, 0
	v_max_i32_e32 v6, v2, v3
	s_delay_alu instid0(VALU_DEP_2) | instskip(NEXT) | instid1(VALU_DEP_2)
	v_dual_mov_b32 v5, v1 :: v_dual_mov_b32 v4, v0
	v_cmp_gt_i32_e64 s2, s37, v6
	v_dual_mov_b32 v7, v1 :: v_dual_mov_b32 v6, v0
	s_delay_alu instid0(VALU_DEP_2)
	s_and_saveexec_b32 s11, s2
	s_cbranch_execz .LBB22_9
; %bb.8:                                ;   in Loop: Header=BB22_7 Depth=2
	v_ashrrev_i32_e32 v6, 31, v3
	v_mul_lo_u32 v7, v3, s25
	v_mad_u64_u32 v[4:5], null, v3, s24, 0
	s_delay_alu instid0(VALU_DEP_3) | instskip(NEXT) | instid1(VALU_DEP_1)
	v_mul_lo_u32 v3, v6, s24
	v_add3_u32 v5, v5, v7, v3
	v_ashrrev_i32_e32 v3, 31, v2
	s_delay_alu instid0(VALU_DEP_2) | instskip(NEXT) | instid1(VALU_DEP_2)
	v_lshlrev_b64 v[4:5], 4, v[4:5]
	v_lshlrev_b64 v[2:3], 4, v[2:3]
	s_delay_alu instid0(VALU_DEP_2) | instskip(NEXT) | instid1(VALU_DEP_1)
	v_add_co_u32 v4, s2, s13, v4
	v_add_co_ci_u32_e64 v5, s2, s20, v5, s2
	s_delay_alu instid0(VALU_DEP_2) | instskip(NEXT) | instid1(VALU_DEP_1)
	v_add_co_u32 v2, s2, v4, v2
	v_add_co_ci_u32_e64 v3, s2, v5, v3, s2
	global_load_b128 v[4:7], v[2:3], off
.LBB22_9:                               ;   in Loop: Header=BB22_7 Depth=2
	s_or_b32 exec_lo, exec_lo, s11
	v_add_nc_u32_e32 v11, s10, v13
	v_dual_mov_b32 v3, v1 :: v_dual_mov_b32 v2, v0
	s_waitcnt vmcnt(0)
	ds_store_b128 v17, v[4:7]
	v_cmp_gt_i32_e64 s2, s37, v11
	s_delay_alu instid0(VALU_DEP_1) | instskip(NEXT) | instid1(SALU_CYCLE_1)
	s_and_b32 s2, s2, vcc_lo
	s_and_saveexec_b32 s11, s2
	s_cbranch_execz .LBB22_11
; %bb.10:                               ;   in Loop: Header=BB22_7 Depth=2
	v_ashrrev_i32_e32 v12, 31, v11
	s_delay_alu instid0(VALU_DEP_1) | instskip(NEXT) | instid1(VALU_DEP_1)
	v_lshlrev_b64 v[0:1], 4, v[11:12]
	v_add_co_u32 v0, s2, v21, v0
	s_delay_alu instid0(VALU_DEP_1)
	v_add_co_ci_u32_e64 v1, s2, v22, v1, s2
	global_load_b128 v[0:3], v[0:1], off
.LBB22_11:                              ;   in Loop: Header=BB22_7 Depth=2
	s_or_b32 exec_lo, exec_lo, s11
	s_waitcnt vmcnt(0)
	ds_store_b128 v18, v[0:3]
	s_waitcnt lgkmcnt(0)
	s_barrier
	buffer_gl0_inv
	s_and_saveexec_b32 s2, s9
	s_cbranch_execz .LBB22_6
; %bb.12:                               ;   in Loop: Header=BB22_7 Depth=2
	v_mov_b32_e32 v0, 0
	v_dual_mov_b32 v1, 0 :: v_dual_mov_b32 v4, v16
	s_mov_b32 s11, 0
	s_delay_alu instid0(VALU_DEP_1)
	v_dual_mov_b32 v3, v1 :: v_dual_mov_b32 v2, v0
.LBB22_13:                              ;   Parent Loop BB22_4 Depth=1
                                        ;     Parent Loop BB22_7 Depth=2
                                        ; =>    This Inner Loop Header: Depth=3
	v_add_nc_u32_e32 v7, s11, v15
	s_addk_i32 s11, 0x80
	ds_load_b128 v[23:26], v4
	ds_load_b128 v[27:30], v7
	ds_load_b128 v[31:34], v4 offset:512
	ds_load_b128 v[35:38], v7 offset:16
	s_cmpk_eq_i32 s11, 0x200
	s_waitcnt lgkmcnt(2)
	v_mul_f64 v[5:6], v[25:26], v[29:30]
	v_mul_f64 v[11:12], v[23:24], v[29:30]
	s_waitcnt lgkmcnt(0)
	v_mul_f64 v[45:46], v[33:34], v[37:38]
	v_mul_f64 v[47:48], v[31:32], v[37:38]
	s_delay_alu instid0(VALU_DEP_4) | instskip(NEXT) | instid1(VALU_DEP_4)
	v_fma_f64 v[5:6], v[23:24], v[27:28], -v[5:6]
	v_fma_f64 v[11:12], v[25:26], v[27:28], v[11:12]
	ds_load_b128 v[23:26], v4 offset:1024
	ds_load_b128 v[27:30], v7 offset:32
	ds_load_b128 v[37:40], v4 offset:1536
	ds_load_b128 v[41:44], v7 offset:48
	v_fma_f64 v[31:32], v[31:32], v[35:36], -v[45:46]
	v_fma_f64 v[33:34], v[33:34], v[35:36], v[47:48]
	s_waitcnt lgkmcnt(2)
	v_mul_f64 v[49:50], v[25:26], v[29:30]
	v_mul_f64 v[29:30], v[23:24], v[29:30]
	v_add_f64 v[0:1], v[0:1], v[5:6]
	v_add_f64 v[2:3], v[2:3], v[11:12]
	s_waitcnt lgkmcnt(0)
	v_mul_f64 v[5:6], v[39:40], v[43:44]
	v_mul_f64 v[11:12], v[37:38], v[43:44]
	v_fma_f64 v[35:36], v[23:24], v[27:28], -v[49:50]
	v_fma_f64 v[43:44], v[25:26], v[27:28], v[29:30]
	v_add_f64 v[45:46], v[0:1], v[31:32]
	v_add_f64 v[47:48], v[2:3], v[33:34]
	ds_load_b128 v[0:3], v4 offset:2048
	ds_load_b128 v[23:26], v7 offset:64
	;; [unrolled: 1-line block ×4, first 2 shown]
	v_fma_f64 v[5:6], v[37:38], v[41:42], -v[5:6]
	v_fma_f64 v[11:12], v[39:40], v[41:42], v[11:12]
	s_waitcnt lgkmcnt(2)
	v_mul_f64 v[49:50], v[2:3], v[25:26]
	v_mul_f64 v[25:26], v[0:1], v[25:26]
	s_waitcnt lgkmcnt(0)
	v_mul_f64 v[41:42], v[29:30], v[33:34]
	v_add_f64 v[35:36], v[45:46], v[35:36]
	v_add_f64 v[37:38], v[47:48], v[43:44]
	v_mul_f64 v[43:44], v[27:28], v[33:34]
	v_fma_f64 v[45:46], v[0:1], v[23:24], -v[49:50]
	v_fma_f64 v[47:48], v[2:3], v[23:24], v[25:26]
	v_fma_f64 v[27:28], v[27:28], v[31:32], -v[41:42]
	v_add_f64 v[5:6], v[35:36], v[5:6]
	v_add_f64 v[11:12], v[37:38], v[11:12]
	ds_load_b128 v[0:3], v4 offset:3072
	ds_load_b128 v[23:26], v7 offset:96
	;; [unrolled: 1-line block ×4, first 2 shown]
	v_fma_f64 v[29:30], v[29:30], v[31:32], v[43:44]
	v_add_nc_u32_e32 v4, 0x1000, v4
	s_waitcnt lgkmcnt(2)
	v_mul_f64 v[49:50], v[2:3], v[25:26]
	v_mul_f64 v[25:26], v[0:1], v[25:26]
	s_waitcnt lgkmcnt(0)
	v_mul_f64 v[31:32], v[35:36], v[39:40]
	v_mul_f64 v[39:40], v[33:34], v[39:40]
	v_add_f64 v[5:6], v[5:6], v[45:46]
	v_add_f64 v[11:12], v[11:12], v[47:48]
	v_fma_f64 v[0:1], v[0:1], v[23:24], -v[49:50]
	v_fma_f64 v[2:3], v[2:3], v[23:24], v[25:26]
	v_fma_f64 v[23:24], v[33:34], v[37:38], -v[31:32]
	v_fma_f64 v[25:26], v[35:36], v[37:38], v[39:40]
	v_add_f64 v[5:6], v[5:6], v[27:28]
	v_add_f64 v[11:12], v[11:12], v[29:30]
	s_delay_alu instid0(VALU_DEP_2) | instskip(NEXT) | instid1(VALU_DEP_2)
	v_add_f64 v[0:1], v[5:6], v[0:1]
	v_add_f64 v[2:3], v[11:12], v[2:3]
	s_delay_alu instid0(VALU_DEP_2) | instskip(NEXT) | instid1(VALU_DEP_2)
	v_add_f64 v[0:1], v[0:1], v[23:24]
	v_add_f64 v[2:3], v[2:3], v[25:26]
	s_cbranch_scc0 .LBB22_13
; %bb.14:                               ;   in Loop: Header=BB22_7 Depth=2
	global_load_b128 v[4:7], v[9:10], off
	v_mul_f64 v[11:12], s[18:19], v[2:3]
	v_mul_f64 v[23:24], s[18:19], v[0:1]
	s_delay_alu instid0(VALU_DEP_2) | instskip(NEXT) | instid1(VALU_DEP_2)
	v_fma_f64 v[0:1], s[16:17], v[0:1], -v[11:12]
	v_fma_f64 v[2:3], s[16:17], v[2:3], v[23:24]
	s_waitcnt vmcnt(0)
	s_delay_alu instid0(VALU_DEP_2) | instskip(NEXT) | instid1(VALU_DEP_2)
	v_add_f64 v[0:1], v[0:1], v[4:5]
	v_add_f64 v[2:3], v[2:3], v[6:7]
	global_store_b128 v[9:10], v[0:3], off
	s_branch .LBB22_6
.LBB22_15:
	s_endpgm
	.section	.rodata,"a",@progbits
	.p2align	6, 0x0
	.amdhsa_kernel _ZL24rocblas_symm_hemm_kernelILb0ELb0ELi32E19rocblas_complex_numIdEPKS1_PS1_EvbiiT2_T3_lllS6_lllT4_llli
		.amdhsa_group_segment_fixed_size 32768
		.amdhsa_private_segment_fixed_size 0
		.amdhsa_kernarg_size 392
		.amdhsa_user_sgpr_count 13
		.amdhsa_user_sgpr_dispatch_ptr 0
		.amdhsa_user_sgpr_queue_ptr 0
		.amdhsa_user_sgpr_kernarg_segment_ptr 1
		.amdhsa_user_sgpr_dispatch_id 0
		.amdhsa_user_sgpr_private_segment_size 0
		.amdhsa_wavefront_size32 1
		.amdhsa_uses_dynamic_stack 0
		.amdhsa_enable_private_segment 0
		.amdhsa_system_sgpr_workgroup_id_x 1
		.amdhsa_system_sgpr_workgroup_id_y 1
		.amdhsa_system_sgpr_workgroup_id_z 1
		.amdhsa_system_sgpr_workgroup_info 0
		.amdhsa_system_vgpr_workitem_id 1
		.amdhsa_next_free_vgpr 51
		.amdhsa_next_free_sgpr 44
		.amdhsa_reserve_vcc 1
		.amdhsa_float_round_mode_32 0
		.amdhsa_float_round_mode_16_64 0
		.amdhsa_float_denorm_mode_32 3
		.amdhsa_float_denorm_mode_16_64 3
		.amdhsa_dx10_clamp 1
		.amdhsa_ieee_mode 1
		.amdhsa_fp16_overflow 0
		.amdhsa_workgroup_processor_mode 1
		.amdhsa_memory_ordered 1
		.amdhsa_forward_progress 0
		.amdhsa_shared_vgpr_count 0
		.amdhsa_exception_fp_ieee_invalid_op 0
		.amdhsa_exception_fp_denorm_src 0
		.amdhsa_exception_fp_ieee_div_zero 0
		.amdhsa_exception_fp_ieee_overflow 0
		.amdhsa_exception_fp_ieee_underflow 0
		.amdhsa_exception_fp_ieee_inexact 0
		.amdhsa_exception_int_div_zero 0
	.end_amdhsa_kernel
	.section	.text._ZL24rocblas_symm_hemm_kernelILb0ELb0ELi32E19rocblas_complex_numIdEPKS1_PS1_EvbiiT2_T3_lllS6_lllT4_llli,"axG",@progbits,_ZL24rocblas_symm_hemm_kernelILb0ELb0ELi32E19rocblas_complex_numIdEPKS1_PS1_EvbiiT2_T3_lllS6_lllT4_llli,comdat
.Lfunc_end22:
	.size	_ZL24rocblas_symm_hemm_kernelILb0ELb0ELi32E19rocblas_complex_numIdEPKS1_PS1_EvbiiT2_T3_lllS6_lllT4_llli, .Lfunc_end22-_ZL24rocblas_symm_hemm_kernelILb0ELb0ELi32E19rocblas_complex_numIdEPKS1_PS1_EvbiiT2_T3_lllS6_lllT4_llli
                                        ; -- End function
	.section	.AMDGPU.csdata,"",@progbits
; Kernel info:
; codeLenInByte = 1604
; NumSgprs: 46
; NumVgprs: 51
; ScratchSize: 0
; MemoryBound: 1
; FloatMode: 240
; IeeeMode: 1
; LDSByteSize: 32768 bytes/workgroup (compile time only)
; SGPRBlocks: 5
; VGPRBlocks: 6
; NumSGPRsForWavesPerEU: 46
; NumVGPRsForWavesPerEU: 51
; Occupancy: 16
; WaveLimiterHint : 0
; COMPUTE_PGM_RSRC2:SCRATCH_EN: 0
; COMPUTE_PGM_RSRC2:USER_SGPR: 13
; COMPUTE_PGM_RSRC2:TRAP_HANDLER: 0
; COMPUTE_PGM_RSRC2:TGID_X_EN: 1
; COMPUTE_PGM_RSRC2:TGID_Y_EN: 1
; COMPUTE_PGM_RSRC2:TGID_Z_EN: 1
; COMPUTE_PGM_RSRC2:TIDIG_COMP_CNT: 1
	.section	.text._ZL24rocblas_symm_hemm_kernelILb0ELb1ELi32E19rocblas_complex_numIdEPKS1_PS1_EvbiiT2_T3_lllS6_lllT4_llli,"axG",@progbits,_ZL24rocblas_symm_hemm_kernelILb0ELb1ELi32E19rocblas_complex_numIdEPKS1_PS1_EvbiiT2_T3_lllS6_lllT4_llli,comdat
	.globl	_ZL24rocblas_symm_hemm_kernelILb0ELb1ELi32E19rocblas_complex_numIdEPKS1_PS1_EvbiiT2_T3_lllS6_lllT4_llli ; -- Begin function _ZL24rocblas_symm_hemm_kernelILb0ELb1ELi32E19rocblas_complex_numIdEPKS1_PS1_EvbiiT2_T3_lllS6_lllT4_llli
	.p2align	8
	.type	_ZL24rocblas_symm_hemm_kernelILb0ELb1ELi32E19rocblas_complex_numIdEPKS1_PS1_EvbiiT2_T3_lllS6_lllT4_llli,@function
_ZL24rocblas_symm_hemm_kernelILb0ELb1ELi32E19rocblas_complex_numIdEPKS1_PS1_EvbiiT2_T3_lllS6_lllT4_llli: ; @_ZL24rocblas_symm_hemm_kernelILb0ELb1ELi32E19rocblas_complex_numIdEPKS1_PS1_EvbiiT2_T3_lllS6_lllT4_llli
; %bb.0:
	s_load_b512 s[16:31], s[0:1], 0x10
	s_waitcnt lgkmcnt(0)
	v_cmp_eq_f64_e64 s2, s[16:17], 0
	v_cmp_eq_f64_e64 s3, s[18:19], 0
	s_delay_alu instid0(VALU_DEP_1) | instskip(NEXT) | instid1(SALU_CYCLE_1)
	s_and_b32 s2, s2, s3
	s_and_b32 vcc_lo, exec_lo, s2
	s_cbranch_vccnz .LBB23_15
; %bb.1:
	s_load_b128 s[36:39], s[0:1], 0x0
	s_waitcnt lgkmcnt(0)
	s_add_i32 s2, s38, -1
	s_delay_alu instid0(SALU_CYCLE_1) | instskip(NEXT) | instid1(SALU_CYCLE_1)
	s_ashr_i32 s3, s2, 31
	s_lshr_b32 s3, s3, 27
	s_delay_alu instid0(SALU_CYCLE_1) | instskip(NEXT) | instid1(SALU_CYCLE_1)
	s_add_i32 s2, s2, s3
	s_ashr_i32 s3, s2, 5
	s_delay_alu instid0(SALU_CYCLE_1)
	s_cmp_gt_i32 s14, s3
	s_cbranch_scc1 .LBB23_15
; %bb.2:
	s_clause 0x1
	s_load_b128 s[40:43], s[0:1], 0x70
	s_load_b256 s[4:11], s[0:1], 0x50
	s_mul_i32 s2, s15, s27
	s_mul_hi_u32 s12, s15, s26
	s_mul_i32 s26, s15, s26
	s_add_i32 s27, s12, s2
	s_load_b32 s12, s[0:1], 0x8c
	s_lshl_b64 s[26:27], s[26:27], 4
	v_and_b32_e32 v12, 0x3ff, v0
	s_add_u32 s2, s20, s26
	s_addc_u32 s26, s21, s27
	s_lshl_b64 s[20:21], s[22:23], 4
	v_bfe_u32 v13, v0, 10, 10
	s_add_u32 s20, s2, s20
	s_addc_u32 s21, s26, s21
	s_bitcmp1_b32 s36, 0
	v_lshl_add_u32 v1, s13, 5, v12
	s_cselect_b32 s0, -1, 0
	v_lshlrev_b32_e32 v0, 4, v13
	v_lshlrev_b32_e32 v14, 9, v12
	s_waitcnt lgkmcnt(0)
	s_mul_i32 s1, s15, s43
	s_mul_hi_u32 s2, s15, s42
	s_mul_i32 s22, s15, s42
	s_add_i32 s23, s2, s1
	s_mul_i32 s1, s15, s7
	s_lshl_b64 s[22:23], s[22:23], 4
	s_mul_hi_u32 s2, s15, s6
	s_add_u32 s7, s8, s22
	s_addc_u32 s13, s9, s23
	s_lshl_b64 s[8:9], s[10:11], 4
	v_ashrrev_i32_e32 v2, 31, v1
	s_add_u32 s8, s7, s8
	s_mul_i32 s6, s15, s6
	s_addc_u32 s9, s13, s9
	s_add_i32 s7, s2, s1
	v_lshlrev_b64 v[2:3], 4, v[1:2]
	s_lshl_b64 s[6:7], s[6:7], 4
	v_or_b32_e32 v15, 0x4000, v0
	s_add_u32 s1, s28, s6
	s_addc_u32 s2, s29, s7
	s_lshl_b64 s[6:7], s[30:31], 4
	v_add_nc_u32_e32 v18, v14, v0
	s_add_u32 s6, s1, s6
	s_addc_u32 s2, s2, s7
	v_add_co_u32 v16, vcc_lo, s6, v2
	v_add_co_ci_u32_e32 v17, vcc_lo, s2, v3, vcc_lo
	v_add_co_u32 v20, vcc_lo, s8, v2
	v_cmp_gt_i32_e64 s1, s37, v1
	v_add_nc_u32_e32 v19, v15, v14
	v_add_co_ci_u32_e32 v21, vcc_lo, s9, v3, vcc_lo
	s_cmp_gt_i32 s38, 0
	s_cselect_b32 s6, -1, 0
	s_branch .LBB23_4
.LBB23_3:                               ;   in Loop: Header=BB23_4 Depth=1
	s_add_i32 s14, s14, s12
	s_delay_alu instid0(SALU_CYCLE_1)
	s_cmp_gt_i32 s14, s3
	s_cbranch_scc1 .LBB23_15
.LBB23_4:                               ; =>This Loop Header: Depth=1
                                        ;     Child Loop BB23_7 Depth 2
                                        ;       Child Loop BB23_13 Depth 3
	s_and_not1_b32 vcc_lo, exec_lo, s6
	s_cbranch_vccnz .LBB23_3
; %bb.5:                                ;   in Loop: Header=BB23_4 Depth=1
	v_lshl_add_u32 v22, s14, 5, v13
	s_mov_b32 s7, 0
	s_delay_alu instid0(VALU_DEP_1) | instskip(SKIP_3) | instid1(VALU_DEP_4)
	v_ashrrev_i32_e32 v2, 31, v22
	v_mul_lo_u32 v3, v22, s41
	v_mad_u64_u32 v[0:1], null, v22, s40, 0
	v_cmp_gt_i32_e32 vcc_lo, s38, v22
	v_mul_lo_u32 v2, v2, s40
	s_delay_alu instid0(VALU_DEP_1) | instskip(NEXT) | instid1(VALU_DEP_1)
	v_add3_u32 v1, v1, v3, v2
	v_lshlrev_b64 v[0:1], 4, v[0:1]
	s_delay_alu instid0(VALU_DEP_1) | instskip(NEXT) | instid1(VALU_DEP_1)
	v_add_co_u32 v8, s2, v20, v0
	v_add_co_ci_u32_e64 v9, s2, v21, v1, s2
	s_and_b32 s2, s1, vcc_lo
	s_branch .LBB23_7
.LBB23_6:                               ;   in Loop: Header=BB23_7 Depth=2
	s_or_b32 exec_lo, exec_lo, s8
	s_add_i32 s7, s7, 32
	s_waitcnt_vscnt null, 0x0
	s_cmp_ge_i32 s7, s38
	s_barrier
	buffer_gl0_inv
	s_cbranch_scc1 .LBB23_3
.LBB23_7:                               ;   Parent Loop BB23_4 Depth=1
                                        ; =>  This Loop Header: Depth=2
                                        ;       Child Loop BB23_13 Depth 3
	v_add_nc_u32_e32 v2, s7, v13
	v_mov_b32_e32 v0, 0
	v_mov_b32_e32 v1, 0
	s_delay_alu instid0(VALU_DEP_3) | instskip(NEXT) | instid1(VALU_DEP_2)
	v_cmp_gt_i32_e32 vcc_lo, s38, v2
	v_dual_mov_b32 v5, v1 :: v_dual_mov_b32 v4, v0
	v_dual_mov_b32 v7, v1 :: v_dual_mov_b32 v6, v0
	s_and_b32 s9, s1, vcc_lo
	s_delay_alu instid0(SALU_CYCLE_1)
	s_and_saveexec_b32 s8, s9
	s_cbranch_execz .LBB23_9
; %bb.8:                                ;   in Loop: Header=BB23_7 Depth=2
	v_ashrrev_i32_e32 v5, 31, v2
	v_mul_lo_u32 v6, v2, s5
	v_mad_u64_u32 v[3:4], null, v2, s4, 0
	s_delay_alu instid0(VALU_DEP_3) | instskip(NEXT) | instid1(VALU_DEP_1)
	v_mul_lo_u32 v2, v5, s4
	v_add3_u32 v4, v4, v6, v2
	s_delay_alu instid0(VALU_DEP_1) | instskip(NEXT) | instid1(VALU_DEP_1)
	v_lshlrev_b64 v[2:3], 4, v[3:4]
	v_add_co_u32 v2, vcc_lo, v16, v2
	s_delay_alu instid0(VALU_DEP_2)
	v_add_co_ci_u32_e32 v3, vcc_lo, v17, v3, vcc_lo
	global_load_b128 v[4:7], v[2:3], off
.LBB23_9:                               ;   in Loop: Header=BB23_7 Depth=2
	s_or_b32 exec_lo, exec_lo, s8
	v_add_nc_u32_e32 v2, s7, v12
	s_waitcnt vmcnt(0)
	ds_store_b128 v18, v[4:7]
	v_cndmask_b32_e64 v3, v22, v2, s0
	v_cndmask_b32_e64 v10, v2, v22, s0
	s_delay_alu instid0(VALU_DEP_1) | instskip(SKIP_2) | instid1(VALU_DEP_1)
	v_cmp_gt_i32_e32 vcc_lo, v3, v10
	v_cndmask_b32_e32 v10, v2, v22, vcc_lo
	v_cndmask_b32_e32 v11, v22, v2, vcc_lo
	v_max_i32_e32 v2, v10, v11
	s_delay_alu instid0(VALU_DEP_1)
	v_cmp_gt_i32_e32 vcc_lo, s38, v2
	v_dual_mov_b32 v3, v1 :: v_dual_mov_b32 v2, v0
	s_and_saveexec_b32 s8, vcc_lo
	s_cbranch_execz .LBB23_11
; %bb.10:                               ;   in Loop: Header=BB23_7 Depth=2
	v_ashrrev_i32_e32 v2, 31, v11
	v_mul_lo_u32 v3, v11, s25
	v_mad_u64_u32 v[0:1], null, v11, s24, 0
	v_ashrrev_i32_e32 v11, 31, v10
	s_delay_alu instid0(VALU_DEP_4) | instskip(NEXT) | instid1(VALU_DEP_1)
	v_mul_lo_u32 v2, v2, s24
	v_add3_u32 v1, v1, v3, v2
	s_delay_alu instid0(VALU_DEP_3) | instskip(NEXT) | instid1(VALU_DEP_2)
	v_lshlrev_b64 v[2:3], 4, v[10:11]
	v_lshlrev_b64 v[0:1], 4, v[0:1]
	s_delay_alu instid0(VALU_DEP_1) | instskip(NEXT) | instid1(VALU_DEP_2)
	v_add_co_u32 v0, vcc_lo, s20, v0
	v_add_co_ci_u32_e32 v1, vcc_lo, s21, v1, vcc_lo
	s_delay_alu instid0(VALU_DEP_2) | instskip(NEXT) | instid1(VALU_DEP_2)
	v_add_co_u32 v0, vcc_lo, v0, v2
	v_add_co_ci_u32_e32 v1, vcc_lo, v1, v3, vcc_lo
	global_load_b128 v[0:3], v[0:1], off
.LBB23_11:                              ;   in Loop: Header=BB23_7 Depth=2
	s_or_b32 exec_lo, exec_lo, s8
	s_waitcnt vmcnt(0)
	ds_store_b128 v19, v[0:3]
	s_waitcnt lgkmcnt(0)
	s_barrier
	buffer_gl0_inv
	s_and_saveexec_b32 s8, s2
	s_cbranch_execz .LBB23_6
; %bb.12:                               ;   in Loop: Header=BB23_7 Depth=2
	v_mov_b32_e32 v0, 0
	v_dual_mov_b32 v1, 0 :: v_dual_mov_b32 v4, v15
	s_mov_b32 s9, 0
	s_delay_alu instid0(VALU_DEP_1)
	v_dual_mov_b32 v3, v1 :: v_dual_mov_b32 v2, v0
.LBB23_13:                              ;   Parent Loop BB23_4 Depth=1
                                        ;     Parent Loop BB23_7 Depth=2
                                        ; =>    This Inner Loop Header: Depth=3
	v_add_nc_u32_e32 v7, s9, v14
	s_addk_i32 s9, 0x80
	ds_load_b128 v[23:26], v4
	ds_load_b128 v[27:30], v7
	ds_load_b128 v[31:34], v4 offset:512
	ds_load_b128 v[35:38], v7 offset:16
	s_cmpk_eq_i32 s9, 0x200
	s_waitcnt lgkmcnt(2)
	v_mul_f64 v[5:6], v[25:26], v[29:30]
	v_mul_f64 v[10:11], v[23:24], v[29:30]
	s_waitcnt lgkmcnt(0)
	v_mul_f64 v[45:46], v[33:34], v[37:38]
	v_mul_f64 v[47:48], v[31:32], v[37:38]
	s_delay_alu instid0(VALU_DEP_4) | instskip(NEXT) | instid1(VALU_DEP_4)
	v_fma_f64 v[5:6], v[23:24], v[27:28], -v[5:6]
	v_fma_f64 v[10:11], v[25:26], v[27:28], v[10:11]
	ds_load_b128 v[23:26], v4 offset:1024
	ds_load_b128 v[27:30], v7 offset:32
	;; [unrolled: 1-line block ×4, first 2 shown]
	v_fma_f64 v[31:32], v[31:32], v[35:36], -v[45:46]
	v_fma_f64 v[33:34], v[33:34], v[35:36], v[47:48]
	s_waitcnt lgkmcnt(2)
	v_mul_f64 v[49:50], v[25:26], v[29:30]
	v_mul_f64 v[29:30], v[23:24], v[29:30]
	v_add_f64 v[0:1], v[0:1], v[5:6]
	v_add_f64 v[2:3], v[2:3], v[10:11]
	s_waitcnt lgkmcnt(0)
	v_mul_f64 v[5:6], v[39:40], v[43:44]
	v_mul_f64 v[10:11], v[37:38], v[43:44]
	v_fma_f64 v[35:36], v[23:24], v[27:28], -v[49:50]
	v_fma_f64 v[43:44], v[25:26], v[27:28], v[29:30]
	v_add_f64 v[45:46], v[0:1], v[31:32]
	v_add_f64 v[47:48], v[2:3], v[33:34]
	ds_load_b128 v[0:3], v4 offset:2048
	ds_load_b128 v[23:26], v7 offset:64
	;; [unrolled: 1-line block ×4, first 2 shown]
	v_fma_f64 v[5:6], v[37:38], v[41:42], -v[5:6]
	v_fma_f64 v[10:11], v[39:40], v[41:42], v[10:11]
	s_waitcnt lgkmcnt(2)
	v_mul_f64 v[49:50], v[2:3], v[25:26]
	v_mul_f64 v[25:26], v[0:1], v[25:26]
	s_waitcnt lgkmcnt(0)
	v_mul_f64 v[41:42], v[29:30], v[33:34]
	v_add_f64 v[35:36], v[45:46], v[35:36]
	v_add_f64 v[37:38], v[47:48], v[43:44]
	v_mul_f64 v[43:44], v[27:28], v[33:34]
	v_fma_f64 v[45:46], v[0:1], v[23:24], -v[49:50]
	v_fma_f64 v[47:48], v[2:3], v[23:24], v[25:26]
	v_fma_f64 v[27:28], v[27:28], v[31:32], -v[41:42]
	v_add_f64 v[5:6], v[35:36], v[5:6]
	v_add_f64 v[10:11], v[37:38], v[10:11]
	ds_load_b128 v[0:3], v4 offset:3072
	ds_load_b128 v[23:26], v7 offset:96
	;; [unrolled: 1-line block ×4, first 2 shown]
	v_fma_f64 v[29:30], v[29:30], v[31:32], v[43:44]
	v_add_nc_u32_e32 v4, 0x1000, v4
	s_waitcnt lgkmcnt(2)
	v_mul_f64 v[49:50], v[2:3], v[25:26]
	v_mul_f64 v[25:26], v[0:1], v[25:26]
	s_waitcnt lgkmcnt(0)
	v_mul_f64 v[31:32], v[35:36], v[39:40]
	v_mul_f64 v[39:40], v[33:34], v[39:40]
	v_add_f64 v[5:6], v[5:6], v[45:46]
	v_add_f64 v[10:11], v[10:11], v[47:48]
	v_fma_f64 v[0:1], v[0:1], v[23:24], -v[49:50]
	v_fma_f64 v[2:3], v[2:3], v[23:24], v[25:26]
	v_fma_f64 v[23:24], v[33:34], v[37:38], -v[31:32]
	v_fma_f64 v[25:26], v[35:36], v[37:38], v[39:40]
	v_add_f64 v[5:6], v[5:6], v[27:28]
	v_add_f64 v[10:11], v[10:11], v[29:30]
	s_delay_alu instid0(VALU_DEP_2) | instskip(NEXT) | instid1(VALU_DEP_2)
	v_add_f64 v[0:1], v[5:6], v[0:1]
	v_add_f64 v[2:3], v[10:11], v[2:3]
	s_delay_alu instid0(VALU_DEP_2) | instskip(NEXT) | instid1(VALU_DEP_2)
	v_add_f64 v[0:1], v[0:1], v[23:24]
	v_add_f64 v[2:3], v[2:3], v[25:26]
	s_cbranch_scc0 .LBB23_13
; %bb.14:                               ;   in Loop: Header=BB23_7 Depth=2
	global_load_b128 v[4:7], v[8:9], off
	v_mul_f64 v[10:11], s[18:19], v[2:3]
	v_mul_f64 v[23:24], s[18:19], v[0:1]
	s_delay_alu instid0(VALU_DEP_2) | instskip(NEXT) | instid1(VALU_DEP_2)
	v_fma_f64 v[0:1], s[16:17], v[0:1], -v[10:11]
	v_fma_f64 v[2:3], s[16:17], v[2:3], v[23:24]
	s_waitcnt vmcnt(0)
	s_delay_alu instid0(VALU_DEP_2) | instskip(NEXT) | instid1(VALU_DEP_2)
	v_add_f64 v[0:1], v[0:1], v[4:5]
	v_add_f64 v[2:3], v[2:3], v[6:7]
	global_store_b128 v[8:9], v[0:3], off
	s_branch .LBB23_6
.LBB23_15:
	s_endpgm
	.section	.rodata,"a",@progbits
	.p2align	6, 0x0
	.amdhsa_kernel _ZL24rocblas_symm_hemm_kernelILb0ELb1ELi32E19rocblas_complex_numIdEPKS1_PS1_EvbiiT2_T3_lllS6_lllT4_llli
		.amdhsa_group_segment_fixed_size 32768
		.amdhsa_private_segment_fixed_size 0
		.amdhsa_kernarg_size 392
		.amdhsa_user_sgpr_count 13
		.amdhsa_user_sgpr_dispatch_ptr 0
		.amdhsa_user_sgpr_queue_ptr 0
		.amdhsa_user_sgpr_kernarg_segment_ptr 1
		.amdhsa_user_sgpr_dispatch_id 0
		.amdhsa_user_sgpr_private_segment_size 0
		.amdhsa_wavefront_size32 1
		.amdhsa_uses_dynamic_stack 0
		.amdhsa_enable_private_segment 0
		.amdhsa_system_sgpr_workgroup_id_x 1
		.amdhsa_system_sgpr_workgroup_id_y 1
		.amdhsa_system_sgpr_workgroup_id_z 1
		.amdhsa_system_sgpr_workgroup_info 0
		.amdhsa_system_vgpr_workitem_id 1
		.amdhsa_next_free_vgpr 51
		.amdhsa_next_free_sgpr 44
		.amdhsa_reserve_vcc 1
		.amdhsa_float_round_mode_32 0
		.amdhsa_float_round_mode_16_64 0
		.amdhsa_float_denorm_mode_32 3
		.amdhsa_float_denorm_mode_16_64 3
		.amdhsa_dx10_clamp 1
		.amdhsa_ieee_mode 1
		.amdhsa_fp16_overflow 0
		.amdhsa_workgroup_processor_mode 1
		.amdhsa_memory_ordered 1
		.amdhsa_forward_progress 0
		.amdhsa_shared_vgpr_count 0
		.amdhsa_exception_fp_ieee_invalid_op 0
		.amdhsa_exception_fp_denorm_src 0
		.amdhsa_exception_fp_ieee_div_zero 0
		.amdhsa_exception_fp_ieee_overflow 0
		.amdhsa_exception_fp_ieee_underflow 0
		.amdhsa_exception_fp_ieee_inexact 0
		.amdhsa_exception_int_div_zero 0
	.end_amdhsa_kernel
	.section	.text._ZL24rocblas_symm_hemm_kernelILb0ELb1ELi32E19rocblas_complex_numIdEPKS1_PS1_EvbiiT2_T3_lllS6_lllT4_llli,"axG",@progbits,_ZL24rocblas_symm_hemm_kernelILb0ELb1ELi32E19rocblas_complex_numIdEPKS1_PS1_EvbiiT2_T3_lllS6_lllT4_llli,comdat
.Lfunc_end23:
	.size	_ZL24rocblas_symm_hemm_kernelILb0ELb1ELi32E19rocblas_complex_numIdEPKS1_PS1_EvbiiT2_T3_lllS6_lllT4_llli, .Lfunc_end23-_ZL24rocblas_symm_hemm_kernelILb0ELb1ELi32E19rocblas_complex_numIdEPKS1_PS1_EvbiiT2_T3_lllS6_lllT4_llli
                                        ; -- End function
	.section	.AMDGPU.csdata,"",@progbits
; Kernel info:
; codeLenInByte = 1556
; NumSgprs: 46
; NumVgprs: 51
; ScratchSize: 0
; MemoryBound: 1
; FloatMode: 240
; IeeeMode: 1
; LDSByteSize: 32768 bytes/workgroup (compile time only)
; SGPRBlocks: 5
; VGPRBlocks: 6
; NumSGPRsForWavesPerEU: 46
; NumVGPRsForWavesPerEU: 51
; Occupancy: 16
; WaveLimiterHint : 0
; COMPUTE_PGM_RSRC2:SCRATCH_EN: 0
; COMPUTE_PGM_RSRC2:USER_SGPR: 13
; COMPUTE_PGM_RSRC2:TRAP_HANDLER: 0
; COMPUTE_PGM_RSRC2:TGID_X_EN: 1
; COMPUTE_PGM_RSRC2:TGID_Y_EN: 1
; COMPUTE_PGM_RSRC2:TGID_Z_EN: 1
; COMPUTE_PGM_RSRC2:TIDIG_COMP_CNT: 1
	.section	.text._ZL24rocblas_symm_hemm_kernelILb1ELb0ELi32EPK19rocblas_complex_numIfES3_PS1_EvbiiT2_T3_lllS6_lllT4_llli,"axG",@progbits,_ZL24rocblas_symm_hemm_kernelILb1ELb0ELi32EPK19rocblas_complex_numIfES3_PS1_EvbiiT2_T3_lllS6_lllT4_llli,comdat
	.globl	_ZL24rocblas_symm_hemm_kernelILb1ELb0ELi32EPK19rocblas_complex_numIfES3_PS1_EvbiiT2_T3_lllS6_lllT4_llli ; -- Begin function _ZL24rocblas_symm_hemm_kernelILb1ELb0ELi32EPK19rocblas_complex_numIfES3_PS1_EvbiiT2_T3_lllS6_lllT4_llli
	.p2align	8
	.type	_ZL24rocblas_symm_hemm_kernelILb1ELb0ELi32EPK19rocblas_complex_numIfES3_PS1_EvbiiT2_T3_lllS6_lllT4_llli,@function
_ZL24rocblas_symm_hemm_kernelILb1ELb0ELi32EPK19rocblas_complex_numIfES3_PS1_EvbiiT2_T3_lllS6_lllT4_llli: ; @_ZL24rocblas_symm_hemm_kernelILb1ELb0ELi32EPK19rocblas_complex_numIfES3_PS1_EvbiiT2_T3_lllS6_lllT4_llli
; %bb.0:
	s_load_b512 s[16:31], s[0:1], 0x10
	s_waitcnt lgkmcnt(0)
	s_load_b64 s[16:17], s[16:17], 0x0
	s_waitcnt lgkmcnt(0)
	v_cmp_eq_f32_e64 s2, s16, 0
	v_cmp_eq_f32_e64 s3, s17, 0
	s_delay_alu instid0(VALU_DEP_1) | instskip(NEXT) | instid1(SALU_CYCLE_1)
	s_and_b32 s2, s2, s3
	s_and_b32 vcc_lo, exec_lo, s2
	s_cbranch_vccnz .LBB24_23
; %bb.1:
	s_load_b128 s[36:39], s[0:1], 0x0
	s_waitcnt lgkmcnt(0)
	s_add_i32 s2, s38, -1
	s_delay_alu instid0(SALU_CYCLE_1) | instskip(NEXT) | instid1(SALU_CYCLE_1)
	s_ashr_i32 s3, s2, 31
	s_lshr_b32 s3, s3, 27
	s_delay_alu instid0(SALU_CYCLE_1) | instskip(NEXT) | instid1(SALU_CYCLE_1)
	s_add_i32 s2, s2, s3
	s_ashr_i32 s12, s2, 5
	s_delay_alu instid0(SALU_CYCLE_1)
	s_cmp_gt_i32 s14, s12
	s_cbranch_scc1 .LBB24_23
; %bb.2:
	s_clause 0x1
	s_load_b256 s[4:11], s[0:1], 0x50
	s_load_b64 s[2:3], s[0:1], 0x70
	v_and_b32_e32 v12, 0x3ff, v0
	s_mul_i32 s25, s15, s25
	s_mul_hi_u32 s33, s15, s24
	s_mul_i32 s24, s15, s24
	v_bfe_u32 v0, v0, 10, 10
	v_lshl_add_u32 v1, s13, 5, v12
	s_load_b32 s13, s[0:1], 0x84
	v_lshlrev_b32_e32 v15, 8, v12
	s_delay_alu instid0(VALU_DEP_3) | instskip(NEXT) | instid1(VALU_DEP_3)
	v_lshlrev_b32_e32 v7, 3, v0
	v_ashrrev_i32_e32 v2, 31, v1
	v_mul_lo_u32 v5, v1, s23
	v_mad_u64_u32 v[3:4], null, v1, s22, 0
	s_delay_alu instid0(VALU_DEP_4) | instskip(NEXT) | instid1(VALU_DEP_4)
	v_or_b32_e32 v16, 0x2000, v7
	v_mul_lo_u32 v6, v2, s22
	v_add_nc_u32_e32 v19, v15, v7
	s_waitcnt lgkmcnt(0)
	s_mul_i32 s1, s15, s5
	s_mul_hi_u32 s5, s15, s4
	s_mul_i32 s0, s15, s4
	s_add_i32 s1, s5, s1
	s_mul_i32 s3, s15, s3
	s_lshl_b64 s[0:1], s[0:1], 3
	v_add3_u32 v4, v4, v5, v6
	s_add_u32 s4, s26, s0
	s_addc_u32 s5, s27, s1
	s_lshl_b64 s[0:1], s[28:29], 3
	s_mul_hi_u32 s26, s15, s2
	s_add_u32 s4, s4, s0
	s_addc_u32 s5, s5, s1
	s_bitcmp1_b32 s36, 0
	s_mul_i32 s2, s15, s2
	s_cselect_b32 s0, -1, 0
	s_add_i32 s3, s26, s3
	v_lshlrev_b64 v[5:6], 3, v[1:2]
	s_lshl_b64 s[2:3], s[2:3], 3
	v_lshlrev_b64 v[2:3], 3, v[3:4]
	s_add_u32 s1, s6, s2
	s_addc_u32 s6, s7, s3
	s_lshl_b64 s[2:3], s[8:9], 3
	v_add_nc_u32_e32 v20, v16, v15
	s_add_u32 s7, s1, s2
	s_addc_u32 s6, s6, s3
	s_add_i32 s25, s33, s25
	s_delay_alu instid0(SALU_CYCLE_1) | instskip(NEXT) | instid1(SALU_CYCLE_1)
	s_lshl_b64 s[2:3], s[24:25], 3
	s_add_u32 s1, s18, s2
	s_addc_u32 s8, s19, s3
	s_lshl_b64 s[2:3], s[20:21], 3
	s_delay_alu instid0(SALU_CYCLE_1)
	s_add_u32 s1, s1, s2
	s_addc_u32 s2, s8, s3
	v_add_co_u32 v13, vcc_lo, s1, v5
	v_add_co_ci_u32_e32 v14, vcc_lo, s2, v6, vcc_lo
	v_add_co_u32 v17, vcc_lo, s1, v2
	v_add_co_ci_u32_e32 v18, vcc_lo, s2, v3, vcc_lo
	;; [unrolled: 2-line block ×3, first 2 shown]
	v_add_co_u32 v2, vcc_lo, v13, v2
	v_cmp_gt_i32_e64 s1, s37, v1
	v_add_co_ci_u32_e32 v3, vcc_lo, v14, v3, vcc_lo
	s_cmp_gt_i32 s37, 0
	s_cselect_b32 s6, -1, 0
	s_branch .LBB24_4
.LBB24_3:                               ;   in Loop: Header=BB24_4 Depth=1
	s_add_i32 s14, s14, s13
	s_delay_alu instid0(SALU_CYCLE_1)
	s_cmp_gt_i32 s14, s12
	s_cbranch_scc1 .LBB24_23
.LBB24_4:                               ; =>This Loop Header: Depth=1
                                        ;     Child Loop BB24_7 Depth 2
                                        ;       Child Loop BB24_21 Depth 3
	s_and_not1_b32 vcc_lo, exec_lo, s6
	s_cbranch_vccnz .LBB24_3
; %bb.5:                                ;   in Loop: Header=BB24_4 Depth=1
	v_lshl_add_u32 v8, s14, 5, v0
	s_mov_b32 s8, 0
	s_delay_alu instid0(VALU_DEP_1) | instskip(SKIP_3) | instid1(VALU_DEP_4)
	v_ashrrev_i32_e32 v9, 31, v8
	v_mul_lo_u32 v10, v8, s31
	v_mad_u64_u32 v[4:5], null, v8, s30, 0
	v_mul_lo_u32 v23, v8, s11
	v_mul_lo_u32 v11, v9, s30
	v_mad_u64_u32 v[6:7], null, v8, s10, 0
	v_mul_lo_u32 v9, v9, s10
	v_cmp_gt_i32_e32 vcc_lo, s38, v8
	s_delay_alu instid0(VALU_DEP_4) | instskip(SKIP_1) | instid1(VALU_DEP_3)
	v_add3_u32 v5, v5, v10, v11
	s_and_b32 s7, s1, vcc_lo
	v_add3_u32 v7, v7, v23, v9
	s_delay_alu instid0(VALU_DEP_2) | instskip(NEXT) | instid1(VALU_DEP_2)
	v_lshlrev_b64 v[4:5], 3, v[4:5]
	v_lshlrev_b64 v[6:7], 3, v[6:7]
	s_delay_alu instid0(VALU_DEP_2) | instskip(NEXT) | instid1(VALU_DEP_1)
	v_add_co_u32 v23, s2, s4, v4
	v_add_co_ci_u32_e64 v24, s2, s5, v5, s2
	s_delay_alu instid0(VALU_DEP_3) | instskip(NEXT) | instid1(VALU_DEP_1)
	v_add_co_u32 v4, s2, v21, v6
	v_add_co_ci_u32_e64 v5, s2, v22, v7, s2
	s_branch .LBB24_7
.LBB24_6:                               ;   in Loop: Header=BB24_7 Depth=2
	s_or_b32 exec_lo, exec_lo, s2
	s_add_i32 s8, s8, 32
	s_waitcnt_vscnt null, 0x0
	s_cmp_ge_i32 s8, s37
	s_barrier
	buffer_gl0_inv
	s_cbranch_scc1 .LBB24_3
.LBB24_7:                               ;   Parent Loop BB24_4 Depth=1
                                        ; =>  This Loop Header: Depth=2
                                        ;       Child Loop BB24_21 Depth 3
	v_add_nc_u32_e32 v7, s8, v0
	s_mov_b32 s9, exec_lo
	s_delay_alu instid0(VALU_DEP_1) | instskip(SKIP_1) | instid1(VALU_DEP_1)
	v_cndmask_b32_e64 v9, v7, v1, s0
	v_cndmask_b32_e64 v10, v1, v7, s0
	v_cmp_gt_i32_e64 s2, v9, v10
	s_delay_alu instid0(VALU_DEP_1) | instskip(SKIP_3) | instid1(VALU_DEP_3)
	v_cndmask_b32_e64 v6, v1, v7, s2
	v_cndmask_b32_e64 v8, v7, v1, s2
	v_cmp_le_i32_e64 s2, v9, v10
	v_mov_b32_e32 v9, 0
	v_max_i32_e32 v11, v6, v8
	v_mov_b32_e32 v6, 0
	v_mov_b32_e32 v8, 0
	s_delay_alu instid0(VALU_DEP_3)
	v_cmpx_gt_i32_e64 s37, v11
	s_cbranch_execz .LBB24_17
; %bb.8:                                ;   in Loop: Header=BB24_7 Depth=2
                                        ; implicit-def: $vgpr9
	s_and_saveexec_b32 s3, s2
	s_delay_alu instid0(SALU_CYCLE_1)
	s_xor_b32 s3, exec_lo, s3
	s_cbranch_execz .LBB24_14
; %bb.9:                                ;   in Loop: Header=BB24_7 Depth=2
	s_mov_b32 s15, exec_lo
                                        ; implicit-def: $vgpr9
	v_cmpx_ne_u32_e64 v1, v7
	s_xor_b32 s15, exec_lo, s15
	s_cbranch_execz .LBB24_11
; %bb.10:                               ;   in Loop: Header=BB24_7 Depth=2
	v_ashrrev_i32_e32 v10, 31, v7
	v_mul_lo_u32 v11, v7, s23
	v_mad_u64_u32 v[8:9], null, v7, s22, 0
	s_delay_alu instid0(VALU_DEP_3) | instskip(NEXT) | instid1(VALU_DEP_1)
	v_mul_lo_u32 v7, v10, s22
	v_add3_u32 v9, v9, v11, v7
	s_delay_alu instid0(VALU_DEP_1) | instskip(NEXT) | instid1(VALU_DEP_1)
	v_lshlrev_b64 v[7:8], 3, v[8:9]
	v_add_co_u32 v7, s2, v13, v7
	s_delay_alu instid0(VALU_DEP_1)
	v_add_co_ci_u32_e64 v8, s2, v14, v8, s2
	global_load_b64 v[8:9], v[7:8], off
.LBB24_11:                              ;   in Loop: Header=BB24_7 Depth=2
	s_and_not1_saveexec_b32 s2, s15
	s_cbranch_execz .LBB24_13
; %bb.12:                               ;   in Loop: Header=BB24_7 Depth=2
	global_load_b32 v8, v[2:3], off
	s_waitcnt vmcnt(1)
	v_mov_b32_e32 v9, 0
.LBB24_13:                              ;   in Loop: Header=BB24_7 Depth=2
	s_or_b32 exec_lo, exec_lo, s2
                                        ; implicit-def: $vgpr7
.LBB24_14:                              ;   in Loop: Header=BB24_7 Depth=2
	s_and_not1_saveexec_b32 s3, s3
	s_cbranch_execz .LBB24_16
; %bb.15:                               ;   in Loop: Header=BB24_7 Depth=2
	s_waitcnt vmcnt(0)
	v_ashrrev_i32_e32 v8, 31, v7
	s_delay_alu instid0(VALU_DEP_1) | instskip(NEXT) | instid1(VALU_DEP_1)
	v_lshlrev_b64 v[7:8], 3, v[7:8]
	v_add_co_u32 v7, s2, v17, v7
	s_delay_alu instid0(VALU_DEP_1)
	v_add_co_ci_u32_e64 v8, s2, v18, v8, s2
	global_load_b64 v[8:9], v[7:8], off
	s_waitcnt vmcnt(0)
	v_xor_b32_e32 v9, 0x80000000, v9
.LBB24_16:                              ;   in Loop: Header=BB24_7 Depth=2
	s_or_b32 exec_lo, exec_lo, s3
.LBB24_17:                              ;   in Loop: Header=BB24_7 Depth=2
	s_delay_alu instid0(SALU_CYCLE_1) | instskip(SKIP_4) | instid1(VALU_DEP_1)
	s_or_b32 exec_lo, exec_lo, s9
	v_dual_mov_b32 v7, 0 :: v_dual_add_nc_u32 v10, s8, v12
	s_waitcnt vmcnt(0)
	ds_store_b64 v19, v[8:9]
	v_cmp_gt_i32_e64 s2, s37, v10
	s_and_b32 s2, s2, vcc_lo
	s_delay_alu instid0(SALU_CYCLE_1)
	s_and_saveexec_b32 s3, s2
	s_cbranch_execz .LBB24_19
; %bb.18:                               ;   in Loop: Header=BB24_7 Depth=2
	v_ashrrev_i32_e32 v11, 31, v10
	s_delay_alu instid0(VALU_DEP_1) | instskip(NEXT) | instid1(VALU_DEP_1)
	v_lshlrev_b64 v[6:7], 3, v[10:11]
	v_add_co_u32 v6, s2, v23, v6
	s_delay_alu instid0(VALU_DEP_1)
	v_add_co_ci_u32_e64 v7, s2, v24, v7, s2
	global_load_b64 v[6:7], v[6:7], off
.LBB24_19:                              ;   in Loop: Header=BB24_7 Depth=2
	s_or_b32 exec_lo, exec_lo, s3
	s_waitcnt vmcnt(0)
	ds_store_b64 v20, v[6:7]
	s_waitcnt lgkmcnt(0)
	s_barrier
	buffer_gl0_inv
	s_and_saveexec_b32 s2, s7
	s_cbranch_execz .LBB24_6
; %bb.20:                               ;   in Loop: Header=BB24_7 Depth=2
	v_dual_mov_b32 v7, 0 :: v_dual_mov_b32 v6, v16
	v_mov_b32_e32 v8, 0
	s_mov_b32 s3, 0
.LBB24_21:                              ;   Parent Loop BB24_4 Depth=1
                                        ;     Parent Loop BB24_7 Depth=2
                                        ; =>    This Inner Loop Header: Depth=3
	s_delay_alu instid0(SALU_CYCLE_1)
	v_add_nc_u32_e32 v9, s3, v15
	ds_load_2addr_b64 v[25:28], v6 offset1:32
	ds_load_2addr_b64 v[29:32], v6 offset0:64 offset1:96
	ds_load_2addr_b64 v[33:36], v6 offset0:128 offset1:160
	;; [unrolled: 1-line block ×3, first 2 shown]
	ds_load_b128 v[41:44], v9
	ds_load_b128 v[45:48], v9 offset:16
	ds_load_b128 v[49:52], v9 offset:32
	;; [unrolled: 1-line block ×3, first 2 shown]
	v_add_nc_u32_e32 v6, 0x800, v6
	s_add_i32 s3, s3, 64
	s_delay_alu instid0(SALU_CYCLE_1)
	s_cmpk_eq_i32 s3, 0x100
	s_waitcnt lgkmcnt(3)
	v_mul_f32_e32 v10, v25, v42
	v_dual_mul_f32 v9, v26, v42 :: v_dual_mul_f32 v42, v27, v44
	s_waitcnt lgkmcnt(2)
	v_dual_mul_f32 v11, v28, v44 :: v_dual_mul_f32 v44, v30, v46
	s_waitcnt lgkmcnt(1)
	v_mul_f32_e32 v58, v34, v50
	v_fma_f32 v9, v25, v41, -v9
	v_dual_mul_f32 v25, v36, v52 :: v_dual_mul_f32 v50, v33, v50
	v_fmac_f32_e32 v10, v26, v41
	v_fma_f32 v11, v27, v43, -v11
	s_delay_alu instid0(VALU_DEP_4) | instskip(SKIP_2) | instid1(VALU_DEP_3)
	v_add_f32_e32 v7, v7, v9
	v_dual_mul_f32 v9, v35, v52 :: v_dual_mul_f32 v46, v29, v46
	v_mul_f32_e32 v57, v32, v48
	v_dual_add_f32 v8, v8, v10 :: v_dual_add_f32 v7, v7, v11
	v_fma_f32 v10, v29, v45, -v44
	v_fmac_f32_e32 v42, v28, v43
	s_delay_alu instid0(VALU_DEP_4) | instskip(SKIP_4) | instid1(VALU_DEP_3)
	v_fma_f32 v26, v31, v47, -v57
	s_waitcnt lgkmcnt(0)
	v_dual_mul_f32 v48, v31, v48 :: v_dual_mul_f32 v11, v38, v54
	v_dual_add_f32 v7, v7, v10 :: v_dual_fmac_f32 v46, v30, v45
	v_fma_f32 v27, v33, v49, -v58
	v_fmac_f32_e32 v48, v32, v47
	v_fma_f32 v25, v35, v51, -v25
	s_delay_alu instid0(VALU_DEP_4) | instskip(SKIP_3) | instid1(VALU_DEP_3)
	v_add_f32_e32 v7, v7, v26
	v_add_f32_e32 v8, v8, v42
	v_fma_f32 v11, v37, v53, -v11
	v_dual_mul_f32 v10, v37, v54 :: v_dual_fmac_f32 v9, v36, v51
	v_dual_add_f32 v7, v7, v27 :: v_dual_add_f32 v8, v8, v46
	v_dual_mul_f32 v27, v39, v56 :: v_dual_fmac_f32 v50, v34, v49
	s_delay_alu instid0(VALU_DEP_3) | instskip(NEXT) | instid1(VALU_DEP_3)
	v_fmac_f32_e32 v10, v38, v53
	v_dual_add_f32 v7, v7, v25 :: v_dual_add_f32 v8, v8, v48
	s_delay_alu instid0(VALU_DEP_3) | instskip(NEXT) | instid1(VALU_DEP_2)
	v_fmac_f32_e32 v27, v40, v55
	v_dual_add_f32 v7, v7, v11 :: v_dual_add_f32 v8, v8, v50
	v_mul_f32_e32 v26, v40, v56
	s_delay_alu instid0(VALU_DEP_2) | instskip(NEXT) | instid1(VALU_DEP_2)
	v_add_f32_e32 v8, v8, v9
	v_fma_f32 v9, v39, v55, -v26
	s_delay_alu instid0(VALU_DEP_1) | instskip(NEXT) | instid1(VALU_DEP_1)
	v_dual_add_f32 v8, v8, v10 :: v_dual_add_f32 v7, v7, v9
	v_add_f32_e32 v8, v8, v27
	s_cbranch_scc0 .LBB24_21
; %bb.22:                               ;   in Loop: Header=BB24_7 Depth=2
	global_load_b64 v[9:10], v[4:5], off
	v_dual_mul_f32 v6, s17, v8 :: v_dual_mul_f32 v11, s17, v7
	s_delay_alu instid0(VALU_DEP_1) | instskip(SKIP_1) | instid1(VALU_DEP_1)
	v_fma_f32 v6, s16, v7, -v6
	s_waitcnt vmcnt(0)
	v_dual_fmac_f32 v11, s16, v8 :: v_dual_add_f32 v6, v6, v9
	s_delay_alu instid0(VALU_DEP_1)
	v_add_f32_e32 v7, v11, v10
	global_store_b64 v[4:5], v[6:7], off
	s_branch .LBB24_6
.LBB24_23:
	s_endpgm
	.section	.rodata,"a",@progbits
	.p2align	6, 0x0
	.amdhsa_kernel _ZL24rocblas_symm_hemm_kernelILb1ELb0ELi32EPK19rocblas_complex_numIfES3_PS1_EvbiiT2_T3_lllS6_lllT4_llli
		.amdhsa_group_segment_fixed_size 16384
		.amdhsa_private_segment_fixed_size 0
		.amdhsa_kernarg_size 384
		.amdhsa_user_sgpr_count 13
		.amdhsa_user_sgpr_dispatch_ptr 0
		.amdhsa_user_sgpr_queue_ptr 0
		.amdhsa_user_sgpr_kernarg_segment_ptr 1
		.amdhsa_user_sgpr_dispatch_id 0
		.amdhsa_user_sgpr_private_segment_size 0
		.amdhsa_wavefront_size32 1
		.amdhsa_uses_dynamic_stack 0
		.amdhsa_enable_private_segment 0
		.amdhsa_system_sgpr_workgroup_id_x 1
		.amdhsa_system_sgpr_workgroup_id_y 1
		.amdhsa_system_sgpr_workgroup_id_z 1
		.amdhsa_system_sgpr_workgroup_info 0
		.amdhsa_system_vgpr_workitem_id 1
		.amdhsa_next_free_vgpr 59
		.amdhsa_next_free_sgpr 40
		.amdhsa_reserve_vcc 1
		.amdhsa_float_round_mode_32 0
		.amdhsa_float_round_mode_16_64 0
		.amdhsa_float_denorm_mode_32 3
		.amdhsa_float_denorm_mode_16_64 3
		.amdhsa_dx10_clamp 1
		.amdhsa_ieee_mode 1
		.amdhsa_fp16_overflow 0
		.amdhsa_workgroup_processor_mode 1
		.amdhsa_memory_ordered 1
		.amdhsa_forward_progress 0
		.amdhsa_shared_vgpr_count 0
		.amdhsa_exception_fp_ieee_invalid_op 0
		.amdhsa_exception_fp_denorm_src 0
		.amdhsa_exception_fp_ieee_div_zero 0
		.amdhsa_exception_fp_ieee_overflow 0
		.amdhsa_exception_fp_ieee_underflow 0
		.amdhsa_exception_fp_ieee_inexact 0
		.amdhsa_exception_int_div_zero 0
	.end_amdhsa_kernel
	.section	.text._ZL24rocblas_symm_hemm_kernelILb1ELb0ELi32EPK19rocblas_complex_numIfES3_PS1_EvbiiT2_T3_lllS6_lllT4_llli,"axG",@progbits,_ZL24rocblas_symm_hemm_kernelILb1ELb0ELi32EPK19rocblas_complex_numIfES3_PS1_EvbiiT2_T3_lllS6_lllT4_llli,comdat
.Lfunc_end24:
	.size	_ZL24rocblas_symm_hemm_kernelILb1ELb0ELi32EPK19rocblas_complex_numIfES3_PS1_EvbiiT2_T3_lllS6_lllT4_llli, .Lfunc_end24-_ZL24rocblas_symm_hemm_kernelILb1ELb0ELi32EPK19rocblas_complex_numIfES3_PS1_EvbiiT2_T3_lllS6_lllT4_llli
                                        ; -- End function
	.section	.AMDGPU.csdata,"",@progbits
; Kernel info:
; codeLenInByte = 1560
; NumSgprs: 42
; NumVgprs: 59
; ScratchSize: 0
; MemoryBound: 0
; FloatMode: 240
; IeeeMode: 1
; LDSByteSize: 16384 bytes/workgroup (compile time only)
; SGPRBlocks: 5
; VGPRBlocks: 7
; NumSGPRsForWavesPerEU: 42
; NumVGPRsForWavesPerEU: 59
; Occupancy: 16
; WaveLimiterHint : 0
; COMPUTE_PGM_RSRC2:SCRATCH_EN: 0
; COMPUTE_PGM_RSRC2:USER_SGPR: 13
; COMPUTE_PGM_RSRC2:TRAP_HANDLER: 0
; COMPUTE_PGM_RSRC2:TGID_X_EN: 1
; COMPUTE_PGM_RSRC2:TGID_Y_EN: 1
; COMPUTE_PGM_RSRC2:TGID_Z_EN: 1
; COMPUTE_PGM_RSRC2:TIDIG_COMP_CNT: 1
	.section	.text._ZL24rocblas_symm_hemm_kernelILb1ELb1ELi32EPK19rocblas_complex_numIfES3_PS1_EvbiiT2_T3_lllS6_lllT4_llli,"axG",@progbits,_ZL24rocblas_symm_hemm_kernelILb1ELb1ELi32EPK19rocblas_complex_numIfES3_PS1_EvbiiT2_T3_lllS6_lllT4_llli,comdat
	.globl	_ZL24rocblas_symm_hemm_kernelILb1ELb1ELi32EPK19rocblas_complex_numIfES3_PS1_EvbiiT2_T3_lllS6_lllT4_llli ; -- Begin function _ZL24rocblas_symm_hemm_kernelILb1ELb1ELi32EPK19rocblas_complex_numIfES3_PS1_EvbiiT2_T3_lllS6_lllT4_llli
	.p2align	8
	.type	_ZL24rocblas_symm_hemm_kernelILb1ELb1ELi32EPK19rocblas_complex_numIfES3_PS1_EvbiiT2_T3_lllS6_lllT4_llli,@function
_ZL24rocblas_symm_hemm_kernelILb1ELb1ELi32EPK19rocblas_complex_numIfES3_PS1_EvbiiT2_T3_lllS6_lllT4_llli: ; @_ZL24rocblas_symm_hemm_kernelILb1ELb1ELi32EPK19rocblas_complex_numIfES3_PS1_EvbiiT2_T3_lllS6_lllT4_llli
; %bb.0:
	s_load_b512 s[16:31], s[0:1], 0x10
	s_waitcnt lgkmcnt(0)
	s_load_b64 s[16:17], s[16:17], 0x0
	s_waitcnt lgkmcnt(0)
	v_cmp_eq_f32_e64 s2, s16, 0
	v_cmp_eq_f32_e64 s3, s17, 0
	s_delay_alu instid0(VALU_DEP_1) | instskip(NEXT) | instid1(SALU_CYCLE_1)
	s_and_b32 s2, s2, s3
	s_and_b32 vcc_lo, exec_lo, s2
	s_cbranch_vccnz .LBB25_23
; %bb.1:
	s_load_b128 s[36:39], s[0:1], 0x0
	s_waitcnt lgkmcnt(0)
	s_add_i32 s2, s38, -1
	s_delay_alu instid0(SALU_CYCLE_1) | instskip(NEXT) | instid1(SALU_CYCLE_1)
	s_ashr_i32 s3, s2, 31
	s_lshr_b32 s3, s3, 27
	s_delay_alu instid0(SALU_CYCLE_1) | instskip(NEXT) | instid1(SALU_CYCLE_1)
	s_add_i32 s2, s2, s3
	s_ashr_i32 s3, s2, 5
	s_delay_alu instid0(SALU_CYCLE_1)
	s_cmp_gt_i32 s14, s3
	s_cbranch_scc1 .LBB25_23
; %bb.2:
	s_clause 0x1
	s_load_b64 s[34:35], s[0:1], 0x70
	s_load_b256 s[4:11], s[0:1], 0x50
	s_mul_i32 s2, s15, s25
	s_mul_hi_u32 s12, s15, s24
	s_mul_i32 s24, s15, s24
	s_add_i32 s25, s12, s2
	s_load_b32 s12, s[0:1], 0x84
	s_lshl_b64 s[24:25], s[24:25], 3
	v_and_b32_e32 v10, 0x3ff, v0
	s_add_u32 s2, s18, s24
	s_addc_u32 s24, s19, s25
	s_lshl_b64 s[18:19], s[20:21], 3
	v_bfe_u32 v11, v0, 10, 10
	s_add_u32 s18, s2, s18
	s_addc_u32 s19, s24, s19
	s_bitcmp1_b32 s36, 0
	v_lshl_add_u32 v1, s13, 5, v10
	s_cselect_b32 s0, -1, 0
	v_lshlrev_b32_e32 v0, 3, v11
	v_lshlrev_b32_e32 v12, 8, v10
	s_waitcnt lgkmcnt(0)
	s_mul_i32 s1, s15, s35
	s_mul_hi_u32 s2, s15, s34
	s_mul_i32 s20, s15, s34
	s_add_i32 s21, s2, s1
	s_mul_i32 s1, s15, s5
	s_lshl_b64 s[20:21], s[20:21], 3
	s_mul_hi_u32 s2, s15, s4
	s_add_u32 s5, s6, s20
	s_addc_u32 s13, s7, s21
	s_lshl_b64 s[6:7], s[8:9], 3
	v_ashrrev_i32_e32 v2, 31, v1
	s_add_u32 s6, s5, s6
	s_mul_i32 s4, s15, s4
	s_addc_u32 s7, s13, s7
	s_add_i32 s5, s2, s1
	v_lshlrev_b64 v[2:3], 3, v[1:2]
	s_lshl_b64 s[4:5], s[4:5], 3
	v_or_b32_e32 v13, 0x2000, v0
	s_add_u32 s1, s26, s4
	s_addc_u32 s2, s27, s5
	s_lshl_b64 s[4:5], s[28:29], 3
	v_add_nc_u32_e32 v16, v12, v0
	s_add_u32 s4, s1, s4
	s_addc_u32 s2, s2, s5
	v_add_co_u32 v14, vcc_lo, s4, v2
	v_add_co_ci_u32_e32 v15, vcc_lo, s2, v3, vcc_lo
	v_add_co_u32 v18, vcc_lo, s6, v2
	v_cmp_gt_i32_e64 s1, s37, v1
	v_add_nc_u32_e32 v17, v13, v12
	v_add_co_ci_u32_e32 v19, vcc_lo, s7, v3, vcc_lo
	s_cmp_gt_i32 s38, 0
	s_cselect_b32 s4, -1, 0
	s_branch .LBB25_4
.LBB25_3:                               ;   in Loop: Header=BB25_4 Depth=1
	s_add_i32 s14, s14, s12
	s_delay_alu instid0(SALU_CYCLE_1)
	s_cmp_gt_i32 s14, s3
	s_cbranch_scc1 .LBB25_23
.LBB25_4:                               ; =>This Loop Header: Depth=1
                                        ;     Child Loop BB25_7 Depth 2
                                        ;       Child Loop BB25_21 Depth 3
	s_and_not1_b32 vcc_lo, exec_lo, s4
	s_cbranch_vccnz .LBB25_3
; %bb.5:                                ;   in Loop: Header=BB25_4 Depth=1
	v_lshl_add_u32 v0, s14, 5, v11
	s_mov_b32 s6, 0
	s_delay_alu instid0(VALU_DEP_1) | instskip(SKIP_3) | instid1(VALU_DEP_4)
	v_ashrrev_i32_e32 v1, 31, v0
	v_mul_lo_u32 v6, v0, s23
	v_mad_u64_u32 v[2:3], null, v0, s22, 0
	v_mul_lo_u32 v8, v0, s11
	v_mul_lo_u32 v7, v1, s22
	v_mad_u64_u32 v[4:5], null, v0, s10, 0
	v_mul_lo_u32 v9, v1, s10
	v_cmp_gt_i32_e32 vcc_lo, s38, v0
	s_delay_alu instid0(VALU_DEP_4) | instskip(SKIP_2) | instid1(VALU_DEP_4)
	v_add3_u32 v3, v3, v6, v7
	v_lshlrev_b64 v[6:7], 3, v[0:1]
	s_and_b32 s5, s1, vcc_lo
	v_add3_u32 v5, v5, v8, v9
	s_delay_alu instid0(VALU_DEP_3) | instskip(NEXT) | instid1(VALU_DEP_3)
	v_lshlrev_b64 v[1:2], 3, v[2:3]
	v_add_co_u32 v20, s2, s18, v6
	s_delay_alu instid0(VALU_DEP_3) | instskip(SKIP_1) | instid1(VALU_DEP_4)
	v_lshlrev_b64 v[3:4], 3, v[4:5]
	v_add_co_ci_u32_e64 v21, s2, s19, v7, s2
	v_add_co_u32 v22, s2, s18, v1
	s_delay_alu instid0(VALU_DEP_1) | instskip(NEXT) | instid1(VALU_DEP_4)
	v_add_co_ci_u32_e64 v23, s2, s19, v2, s2
	v_add_co_u32 v1, s2, v18, v3
	s_delay_alu instid0(VALU_DEP_1) | instskip(NEXT) | instid1(VALU_DEP_4)
	v_add_co_ci_u32_e64 v2, s2, v19, v4, s2
	v_add_co_u32 v3, s2, v22, v6
	s_delay_alu instid0(VALU_DEP_1)
	v_add_co_ci_u32_e64 v4, s2, v23, v7, s2
	s_branch .LBB25_7
.LBB25_6:                               ;   in Loop: Header=BB25_7 Depth=2
	s_or_b32 exec_lo, exec_lo, s2
	s_add_i32 s6, s6, 32
	s_waitcnt_vscnt null, 0x0
	s_cmp_ge_i32 s6, s38
	s_barrier
	buffer_gl0_inv
	s_cbranch_scc1 .LBB25_3
.LBB25_7:                               ;   Parent Loop BB25_4 Depth=1
                                        ; =>  This Loop Header: Depth=2
                                        ;       Child Loop BB25_21 Depth 3
	v_dual_mov_b32 v5, 0 :: v_dual_add_nc_u32 v6, s6, v11
	v_dual_mov_b32 v8, 0 :: v_dual_mov_b32 v9, 0
	s_delay_alu instid0(VALU_DEP_2) | instskip(SKIP_1) | instid1(SALU_CYCLE_1)
	v_cmp_gt_i32_e32 vcc_lo, s38, v6
	s_and_b32 s7, s1, vcc_lo
	s_and_saveexec_b32 s2, s7
	s_cbranch_execz .LBB25_9
; %bb.8:                                ;   in Loop: Header=BB25_7 Depth=2
	v_ashrrev_i32_e32 v9, 31, v6
	v_mul_lo_u32 v24, v6, s31
	v_mad_u64_u32 v[7:8], null, v6, s30, 0
	s_delay_alu instid0(VALU_DEP_3) | instskip(NEXT) | instid1(VALU_DEP_1)
	v_mul_lo_u32 v6, v9, s30
	v_add3_u32 v8, v8, v24, v6
	s_delay_alu instid0(VALU_DEP_1) | instskip(NEXT) | instid1(VALU_DEP_1)
	v_lshlrev_b64 v[6:7], 3, v[7:8]
	v_add_co_u32 v6, vcc_lo, v14, v6
	s_delay_alu instid0(VALU_DEP_2)
	v_add_co_ci_u32_e32 v7, vcc_lo, v15, v7, vcc_lo
	global_load_b64 v[8:9], v[6:7], off
.LBB25_9:                               ;   in Loop: Header=BB25_7 Depth=2
	s_or_b32 exec_lo, exec_lo, s2
	v_add_nc_u32_e32 v7, s6, v10
	s_mov_b32 s7, exec_lo
	s_waitcnt vmcnt(0)
	ds_store_b64 v16, v[8:9]
	v_cndmask_b32_e64 v6, v0, v7, s0
	v_cndmask_b32_e64 v24, v7, v0, s0
	s_delay_alu instid0(VALU_DEP_1) | instskip(SKIP_3) | instid1(VALU_DEP_3)
	v_cmp_gt_i32_e32 vcc_lo, v6, v24
	v_dual_cndmask_b32 v25, v7, v0 :: v_dual_cndmask_b32 v26, v0, v7
	v_cmp_le_i32_e32 vcc_lo, v6, v24
	v_mov_b32_e32 v6, 0
	v_max_i32_e32 v25, v25, v26
	s_delay_alu instid0(VALU_DEP_1)
	v_cmpx_gt_i32_e64 s38, v25
	s_cbranch_execz .LBB25_19
; %bb.10:                               ;   in Loop: Header=BB25_7 Depth=2
                                        ; implicit-def: $vgpr6
	s_and_saveexec_b32 s2, vcc_lo
	s_delay_alu instid0(SALU_CYCLE_1)
	s_xor_b32 s2, exec_lo, s2
	s_cbranch_execz .LBB25_16
; %bb.11:                               ;   in Loop: Header=BB25_7 Depth=2
	s_mov_b32 s8, exec_lo
                                        ; implicit-def: $vgpr6
	v_cmpx_ne_u32_e64 v7, v0
	s_xor_b32 s8, exec_lo, s8
	s_cbranch_execz .LBB25_13
; %bb.12:                               ;   in Loop: Header=BB25_7 Depth=2
	v_ashrrev_i32_e32 v8, 31, v7
	s_delay_alu instid0(VALU_DEP_1) | instskip(NEXT) | instid1(VALU_DEP_1)
	v_lshlrev_b64 v[5:6], 3, v[7:8]
	v_add_co_u32 v5, vcc_lo, v22, v5
	s_delay_alu instid0(VALU_DEP_2)
	v_add_co_ci_u32_e32 v6, vcc_lo, v23, v6, vcc_lo
	global_load_b64 v[5:6], v[5:6], off
.LBB25_13:                              ;   in Loop: Header=BB25_7 Depth=2
	s_and_not1_saveexec_b32 s8, s8
	s_cbranch_execz .LBB25_15
; %bb.14:                               ;   in Loop: Header=BB25_7 Depth=2
	global_load_b32 v5, v[3:4], off
	s_waitcnt vmcnt(1)
	v_mov_b32_e32 v6, 0
.LBB25_15:                              ;   in Loop: Header=BB25_7 Depth=2
	s_or_b32 exec_lo, exec_lo, s8
                                        ; implicit-def: $vgpr7
.LBB25_16:                              ;   in Loop: Header=BB25_7 Depth=2
	s_and_not1_saveexec_b32 s2, s2
	s_cbranch_execz .LBB25_18
; %bb.17:                               ;   in Loop: Header=BB25_7 Depth=2
	v_ashrrev_i32_e32 v8, 31, v7
	v_mul_lo_u32 v9, v7, s23
	s_waitcnt vmcnt(0)
	v_mad_u64_u32 v[5:6], null, v7, s22, 0
	s_delay_alu instid0(VALU_DEP_3) | instskip(NEXT) | instid1(VALU_DEP_1)
	v_mul_lo_u32 v7, v8, s22
	v_add3_u32 v6, v6, v9, v7
	s_delay_alu instid0(VALU_DEP_1) | instskip(NEXT) | instid1(VALU_DEP_1)
	v_lshlrev_b64 v[5:6], 3, v[5:6]
	v_add_co_u32 v5, vcc_lo, v20, v5
	s_delay_alu instid0(VALU_DEP_2)
	v_add_co_ci_u32_e32 v6, vcc_lo, v21, v6, vcc_lo
	global_load_b64 v[5:6], v[5:6], off
	s_waitcnt vmcnt(0)
	v_xor_b32_e32 v6, 0x80000000, v6
.LBB25_18:                              ;   in Loop: Header=BB25_7 Depth=2
	s_or_b32 exec_lo, exec_lo, s2
.LBB25_19:                              ;   in Loop: Header=BB25_7 Depth=2
	s_delay_alu instid0(SALU_CYCLE_1)
	s_or_b32 exec_lo, exec_lo, s7
	s_waitcnt vmcnt(0)
	ds_store_b64 v17, v[5:6]
	s_waitcnt lgkmcnt(0)
	s_barrier
	buffer_gl0_inv
	s_and_saveexec_b32 s2, s5
	s_cbranch_execz .LBB25_6
; %bb.20:                               ;   in Loop: Header=BB25_7 Depth=2
	v_dual_mov_b32 v6, 0 :: v_dual_mov_b32 v5, v13
	v_mov_b32_e32 v7, 0
	s_mov_b32 s7, 0
.LBB25_21:                              ;   Parent Loop BB25_4 Depth=1
                                        ;     Parent Loop BB25_7 Depth=2
                                        ; =>    This Inner Loop Header: Depth=3
	s_delay_alu instid0(SALU_CYCLE_1)
	v_add_nc_u32_e32 v8, s7, v12
	ds_load_2addr_b64 v[24:27], v5 offset1:32
	ds_load_2addr_b64 v[28:31], v5 offset0:64 offset1:96
	ds_load_2addr_b64 v[32:35], v5 offset0:128 offset1:160
	;; [unrolled: 1-line block ×3, first 2 shown]
	ds_load_b128 v[40:43], v8
	ds_load_b128 v[44:47], v8 offset:16
	ds_load_b128 v[48:51], v8 offset:32
	;; [unrolled: 1-line block ×3, first 2 shown]
	v_add_nc_u32_e32 v5, 0x800, v5
	s_add_i32 s7, s7, 64
	s_delay_alu instid0(SALU_CYCLE_1)
	s_cmpk_eq_i32 s7, 0x100
	s_waitcnt lgkmcnt(3)
	v_mul_f32_e32 v9, v24, v41
	v_dual_mul_f32 v8, v25, v41 :: v_dual_mul_f32 v41, v27, v43
	s_waitcnt lgkmcnt(2)
	v_dual_mul_f32 v43, v26, v43 :: v_dual_mul_f32 v56, v29, v45
	s_waitcnt lgkmcnt(1)
	v_dual_mul_f32 v57, v31, v47 :: v_dual_mul_f32 v58, v33, v49
	v_fma_f32 v8, v24, v40, -v8
	v_mul_f32_e32 v49, v32, v49
	v_fmac_f32_e32 v9, v25, v40
	v_fma_f32 v25, v26, v42, -v41
	v_dual_mul_f32 v45, v28, v45 :: v_dual_mul_f32 v24, v35, v51
	v_dual_add_f32 v6, v6, v8 :: v_dual_fmac_f32 v43, v27, v42
	v_mul_f32_e32 v8, v34, v51
	v_fma_f32 v26, v30, v46, -v57
	v_add_f32_e32 v7, v7, v9
	v_fma_f32 v9, v28, v44, -v56
	v_dual_add_f32 v6, v6, v25 :: v_dual_fmac_f32 v45, v29, v44
	v_dual_mul_f32 v47, v30, v47 :: v_dual_fmac_f32 v8, v35, v50
	v_fma_f32 v27, v32, v48, -v58
	s_delay_alu instid0(VALU_DEP_3) | instskip(SKIP_3) | instid1(VALU_DEP_3)
	v_add_f32_e32 v6, v6, v9
	s_waitcnt lgkmcnt(0)
	v_mul_f32_e32 v25, v37, v53
	v_fma_f32 v24, v34, v50, -v24
	v_dual_mul_f32 v9, v36, v53 :: v_dual_add_f32 v6, v6, v26
	v_mul_f32_e32 v26, v39, v55
	v_fmac_f32_e32 v47, v31, v46
	v_fma_f32 v25, v36, v52, -v25
	s_delay_alu instid0(VALU_DEP_4) | instskip(SKIP_2) | instid1(VALU_DEP_3)
	v_dual_fmac_f32 v9, v37, v52 :: v_dual_add_f32 v6, v6, v27
	v_add_f32_e32 v7, v7, v43
	v_mul_f32_e32 v27, v38, v55
	v_add_f32_e32 v6, v6, v24
	v_fmac_f32_e32 v49, v33, v48
	s_delay_alu instid0(VALU_DEP_2) | instskip(SKIP_1) | instid1(VALU_DEP_1)
	v_dual_fmac_f32 v27, v39, v54 :: v_dual_add_f32 v6, v6, v25
	v_add_f32_e32 v7, v7, v45
	v_add_f32_e32 v7, v7, v47
	s_delay_alu instid0(VALU_DEP_1) | instskip(NEXT) | instid1(VALU_DEP_1)
	v_add_f32_e32 v7, v7, v49
	v_add_f32_e32 v7, v7, v8
	v_fma_f32 v8, v38, v54, -v26
	s_delay_alu instid0(VALU_DEP_1) | instskip(NEXT) | instid1(VALU_DEP_1)
	v_dual_add_f32 v7, v7, v9 :: v_dual_add_f32 v6, v6, v8
	v_add_f32_e32 v7, v7, v27
	s_cbranch_scc0 .LBB25_21
; %bb.22:                               ;   in Loop: Header=BB25_7 Depth=2
	global_load_b64 v[8:9], v[1:2], off
	v_dual_mul_f32 v5, s17, v7 :: v_dual_mul_f32 v24, s17, v6
	s_delay_alu instid0(VALU_DEP_1) | instskip(SKIP_1) | instid1(VALU_DEP_1)
	v_fma_f32 v5, s16, v6, -v5
	s_waitcnt vmcnt(0)
	v_dual_fmac_f32 v24, s16, v7 :: v_dual_add_f32 v5, v5, v8
	s_delay_alu instid0(VALU_DEP_1)
	v_add_f32_e32 v6, v24, v9
	global_store_b64 v[1:2], v[5:6], off
	s_branch .LBB25_6
.LBB25_23:
	s_endpgm
	.section	.rodata,"a",@progbits
	.p2align	6, 0x0
	.amdhsa_kernel _ZL24rocblas_symm_hemm_kernelILb1ELb1ELi32EPK19rocblas_complex_numIfES3_PS1_EvbiiT2_T3_lllS6_lllT4_llli
		.amdhsa_group_segment_fixed_size 16384
		.amdhsa_private_segment_fixed_size 0
		.amdhsa_kernarg_size 384
		.amdhsa_user_sgpr_count 13
		.amdhsa_user_sgpr_dispatch_ptr 0
		.amdhsa_user_sgpr_queue_ptr 0
		.amdhsa_user_sgpr_kernarg_segment_ptr 1
		.amdhsa_user_sgpr_dispatch_id 0
		.amdhsa_user_sgpr_private_segment_size 0
		.amdhsa_wavefront_size32 1
		.amdhsa_uses_dynamic_stack 0
		.amdhsa_enable_private_segment 0
		.amdhsa_system_sgpr_workgroup_id_x 1
		.amdhsa_system_sgpr_workgroup_id_y 1
		.amdhsa_system_sgpr_workgroup_id_z 1
		.amdhsa_system_sgpr_workgroup_info 0
		.amdhsa_system_vgpr_workitem_id 1
		.amdhsa_next_free_vgpr 59
		.amdhsa_next_free_sgpr 40
		.amdhsa_reserve_vcc 1
		.amdhsa_float_round_mode_32 0
		.amdhsa_float_round_mode_16_64 0
		.amdhsa_float_denorm_mode_32 3
		.amdhsa_float_denorm_mode_16_64 3
		.amdhsa_dx10_clamp 1
		.amdhsa_ieee_mode 1
		.amdhsa_fp16_overflow 0
		.amdhsa_workgroup_processor_mode 1
		.amdhsa_memory_ordered 1
		.amdhsa_forward_progress 0
		.amdhsa_shared_vgpr_count 0
		.amdhsa_exception_fp_ieee_invalid_op 0
		.amdhsa_exception_fp_denorm_src 0
		.amdhsa_exception_fp_ieee_div_zero 0
		.amdhsa_exception_fp_ieee_overflow 0
		.amdhsa_exception_fp_ieee_underflow 0
		.amdhsa_exception_fp_ieee_inexact 0
		.amdhsa_exception_int_div_zero 0
	.end_amdhsa_kernel
	.section	.text._ZL24rocblas_symm_hemm_kernelILb1ELb1ELi32EPK19rocblas_complex_numIfES3_PS1_EvbiiT2_T3_lllS6_lllT4_llli,"axG",@progbits,_ZL24rocblas_symm_hemm_kernelILb1ELb1ELi32EPK19rocblas_complex_numIfES3_PS1_EvbiiT2_T3_lllS6_lllT4_llli,comdat
.Lfunc_end25:
	.size	_ZL24rocblas_symm_hemm_kernelILb1ELb1ELi32EPK19rocblas_complex_numIfES3_PS1_EvbiiT2_T3_lllS6_lllT4_llli, .Lfunc_end25-_ZL24rocblas_symm_hemm_kernelILb1ELb1ELi32EPK19rocblas_complex_numIfES3_PS1_EvbiiT2_T3_lllS6_lllT4_llli
                                        ; -- End function
	.section	.AMDGPU.csdata,"",@progbits
; Kernel info:
; codeLenInByte = 1520
; NumSgprs: 42
; NumVgprs: 59
; ScratchSize: 0
; MemoryBound: 0
; FloatMode: 240
; IeeeMode: 1
; LDSByteSize: 16384 bytes/workgroup (compile time only)
; SGPRBlocks: 5
; VGPRBlocks: 7
; NumSGPRsForWavesPerEU: 42
; NumVGPRsForWavesPerEU: 59
; Occupancy: 16
; WaveLimiterHint : 0
; COMPUTE_PGM_RSRC2:SCRATCH_EN: 0
; COMPUTE_PGM_RSRC2:USER_SGPR: 13
; COMPUTE_PGM_RSRC2:TRAP_HANDLER: 0
; COMPUTE_PGM_RSRC2:TGID_X_EN: 1
; COMPUTE_PGM_RSRC2:TGID_Y_EN: 1
; COMPUTE_PGM_RSRC2:TGID_Z_EN: 1
; COMPUTE_PGM_RSRC2:TIDIG_COMP_CNT: 1
	.section	.text._ZL24rocblas_symm_hemm_kernelILb1ELb0ELi32E19rocblas_complex_numIfEPKS1_PS1_EvbiiT2_T3_lllS6_lllT4_llli,"axG",@progbits,_ZL24rocblas_symm_hemm_kernelILb1ELb0ELi32E19rocblas_complex_numIfEPKS1_PS1_EvbiiT2_T3_lllS6_lllT4_llli,comdat
	.globl	_ZL24rocblas_symm_hemm_kernelILb1ELb0ELi32E19rocblas_complex_numIfEPKS1_PS1_EvbiiT2_T3_lllS6_lllT4_llli ; -- Begin function _ZL24rocblas_symm_hemm_kernelILb1ELb0ELi32E19rocblas_complex_numIfEPKS1_PS1_EvbiiT2_T3_lllS6_lllT4_llli
	.p2align	8
	.type	_ZL24rocblas_symm_hemm_kernelILb1ELb0ELi32E19rocblas_complex_numIfEPKS1_PS1_EvbiiT2_T3_lllS6_lllT4_llli,@function
_ZL24rocblas_symm_hemm_kernelILb1ELb0ELi32E19rocblas_complex_numIfEPKS1_PS1_EvbiiT2_T3_lllS6_lllT4_llli: ; @_ZL24rocblas_symm_hemm_kernelILb1ELb0ELi32E19rocblas_complex_numIfEPKS1_PS1_EvbiiT2_T3_lllS6_lllT4_llli
; %bb.0:
	s_clause 0x1
	s_load_b128 s[36:39], s[0:1], 0x0
	s_load_b32 s12, s[0:1], 0x10
	s_waitcnt lgkmcnt(0)
	v_cmp_eq_f32_e64 s2, s39, 0
	v_cmp_eq_f32_e64 s3, s12, 0
	s_delay_alu instid0(VALU_DEP_1) | instskip(NEXT) | instid1(SALU_CYCLE_1)
	s_and_b32 s2, s2, s3
	s_and_b32 vcc_lo, exec_lo, s2
	s_cbranch_vccnz .LBB26_23
; %bb.1:
	s_add_i32 s2, s38, -1
	s_delay_alu instid0(SALU_CYCLE_1) | instskip(NEXT) | instid1(SALU_CYCLE_1)
	s_ashr_i32 s3, s2, 31
	s_lshr_b32 s3, s3, 27
	s_delay_alu instid0(SALU_CYCLE_1) | instskip(NEXT) | instid1(SALU_CYCLE_1)
	s_add_i32 s2, s2, s3
	s_ashr_i32 s33, s2, 5
	s_delay_alu instid0(SALU_CYCLE_1)
	s_cmp_gt_i32 s14, s33
	s_cbranch_scc1 .LBB26_23
; %bb.2:
	s_clause 0x1
	s_load_b512 s[16:31], s[0:1], 0x18
	s_load_b256 s[4:11], s[0:1], 0x58
	v_and_b32_e32 v11, 0x3ff, v0
	v_bfe_u32 v12, v0, 10, 10
	s_delay_alu instid0(VALU_DEP_2) | instskip(NEXT) | instid1(VALU_DEP_2)
	v_lshl_add_u32 v0, s13, 5, v11
	v_lshlrev_b32_e32 v6, 3, v12
	v_lshlrev_b32_e32 v13, 8, v11
	s_delay_alu instid0(VALU_DEP_3) | instskip(NEXT) | instid1(VALU_DEP_3)
	v_ashrrev_i32_e32 v1, 31, v0
	v_or_b32_e32 v16, 0x2000, v6
	s_delay_alu instid0(VALU_DEP_3) | instskip(NEXT) | instid1(VALU_DEP_2)
	v_add_nc_u32_e32 v19, v13, v6
	v_add_nc_u32_e32 v20, v16, v13
	s_waitcnt lgkmcnt(0)
	s_mul_i32 s3, s15, s31
	s_mul_hi_u32 s13, s15, s30
	s_mul_i32 s2, s15, s30
	s_add_i32 s3, s13, s3
	s_mul_hi_u32 s34, s15, s10
	s_lshl_b64 s[2:3], s[2:3], 3
	s_mul_i32 s30, s15, s10
	s_add_u32 s10, s24, s2
	s_mul_i32 s31, s15, s11
	s_addc_u32 s11, s25, s3
	s_lshl_b64 s[2:3], s[26:27], 3
	v_mul_lo_u32 v4, v1, s20
	s_add_u32 s10, s10, s2
	s_addc_u32 s11, s11, s3
	s_bitcmp1_b32 s36, 0
	v_mul_lo_u32 v5, v0, s21
	s_cselect_b32 s2, -1, 0
	s_add_i32 s31, s34, s31
	v_mad_u64_u32 v[2:3], null, v0, s20, 0
	s_lshl_b64 s[24:25], s[30:31], 3
	s_mul_i32 s13, s15, s23
	s_add_u32 s3, s4, s24
	s_addc_u32 s24, s5, s25
	s_lshl_b64 s[4:5], s[6:7], 3
	s_mul_hi_u32 s23, s15, s22
	s_add_u32 s3, s3, s4
	s_mul_i32 s6, s15, s22
	s_addc_u32 s15, s24, s5
	s_add_i32 s7, s23, s13
	v_add3_u32 v3, v3, v5, v4
	s_lshl_b64 s[4:5], s[6:7], 3
	v_lshlrev_b64 v[4:5], 3, v[0:1]
	s_add_u32 s6, s16, s4
	s_addc_u32 s7, s17, s5
	s_lshl_b64 s[4:5], s[18:19], 3
	v_lshlrev_b64 v[1:2], 3, v[2:3]
	s_add_u32 s6, s6, s4
	s_load_b32 s4, s[0:1], 0x84
	s_addc_u32 s5, s7, s5
	v_add_co_u32 v14, vcc_lo, s6, v4
	v_add_co_ci_u32_e32 v15, vcc_lo, s5, v5, vcc_lo
	v_add_co_u32 v17, vcc_lo, s6, v1
	v_add_co_ci_u32_e32 v18, vcc_lo, s5, v2, vcc_lo
	;; [unrolled: 2-line block ×3, first 2 shown]
	v_add_co_u32 v1, vcc_lo, v14, v1
	v_cmp_gt_i32_e64 s0, s37, v0
	v_add_co_ci_u32_e32 v2, vcc_lo, v15, v2, vcc_lo
	s_cmp_gt_i32 s37, 0
	s_cselect_b32 s5, -1, 0
	s_branch .LBB26_4
.LBB26_3:                               ;   in Loop: Header=BB26_4 Depth=1
	s_waitcnt lgkmcnt(0)
	s_add_i32 s14, s14, s4
	s_delay_alu instid0(SALU_CYCLE_1)
	s_cmp_gt_i32 s14, s33
	s_cbranch_scc1 .LBB26_23
.LBB26_4:                               ; =>This Loop Header: Depth=1
                                        ;     Child Loop BB26_7 Depth 2
                                        ;       Child Loop BB26_21 Depth 3
	s_and_not1_b32 vcc_lo, exec_lo, s5
	s_cbranch_vccnz .LBB26_3
; %bb.5:                                ;   in Loop: Header=BB26_4 Depth=1
	v_lshl_add_u32 v7, s14, 5, v12
	s_mov_b32 s7, 0
	s_delay_alu instid0(VALU_DEP_1) | instskip(SKIP_3) | instid1(VALU_DEP_4)
	v_ashrrev_i32_e32 v8, 31, v7
	v_mul_lo_u32 v9, v7, s29
	v_mad_u64_u32 v[3:4], null, v7, s28, 0
	v_mul_lo_u32 v23, v7, s9
	v_mul_lo_u32 v10, v8, s28
	v_mad_u64_u32 v[5:6], null, v7, s8, 0
	v_mul_lo_u32 v8, v8, s8
	v_cmp_gt_i32_e32 vcc_lo, s38, v7
	s_delay_alu instid0(VALU_DEP_4) | instskip(SKIP_1) | instid1(VALU_DEP_3)
	v_add3_u32 v4, v4, v9, v10
	s_and_b32 s6, s0, vcc_lo
	v_add3_u32 v6, v6, v23, v8
	s_delay_alu instid0(VALU_DEP_2) | instskip(NEXT) | instid1(VALU_DEP_2)
	v_lshlrev_b64 v[3:4], 3, v[3:4]
	v_lshlrev_b64 v[5:6], 3, v[5:6]
	s_delay_alu instid0(VALU_DEP_2) | instskip(NEXT) | instid1(VALU_DEP_1)
	v_add_co_u32 v23, s1, s10, v3
	v_add_co_ci_u32_e64 v24, s1, s11, v4, s1
	s_delay_alu instid0(VALU_DEP_3) | instskip(NEXT) | instid1(VALU_DEP_1)
	v_add_co_u32 v3, s1, v21, v5
	v_add_co_ci_u32_e64 v4, s1, v22, v6, s1
	s_branch .LBB26_7
.LBB26_6:                               ;   in Loop: Header=BB26_7 Depth=2
	s_or_b32 exec_lo, exec_lo, s1
	s_add_i32 s7, s7, 32
	s_waitcnt_vscnt null, 0x0
	s_cmp_ge_i32 s7, s37
	s_barrier
	buffer_gl0_inv
	s_cbranch_scc1 .LBB26_3
.LBB26_7:                               ;   Parent Loop BB26_4 Depth=1
                                        ; =>  This Loop Header: Depth=2
                                        ;       Child Loop BB26_21 Depth 3
	v_add_nc_u32_e32 v6, s7, v12
	s_mov_b32 s13, exec_lo
	s_delay_alu instid0(VALU_DEP_1) | instskip(SKIP_1) | instid1(VALU_DEP_1)
	v_cndmask_b32_e64 v8, v6, v0, s2
	v_cndmask_b32_e64 v9, v0, v6, s2
	v_cmp_gt_i32_e64 s1, v8, v9
	s_delay_alu instid0(VALU_DEP_1) | instskip(SKIP_3) | instid1(VALU_DEP_3)
	v_cndmask_b32_e64 v5, v0, v6, s1
	v_cndmask_b32_e64 v7, v6, v0, s1
	v_cmp_le_i32_e64 s1, v8, v9
	v_mov_b32_e32 v8, 0
	v_max_i32_e32 v10, v5, v7
	v_mov_b32_e32 v5, 0
	v_mov_b32_e32 v7, 0
	s_delay_alu instid0(VALU_DEP_3)
	v_cmpx_gt_i32_e64 s37, v10
	s_cbranch_execz .LBB26_17
; %bb.8:                                ;   in Loop: Header=BB26_7 Depth=2
                                        ; implicit-def: $vgpr8
	s_and_saveexec_b32 s3, s1
	s_delay_alu instid0(SALU_CYCLE_1)
	s_xor_b32 s3, exec_lo, s3
	s_cbranch_execz .LBB26_14
; %bb.9:                                ;   in Loop: Header=BB26_7 Depth=2
	s_mov_b32 s15, exec_lo
                                        ; implicit-def: $vgpr8
	v_cmpx_ne_u32_e64 v0, v6
	s_xor_b32 s15, exec_lo, s15
	s_cbranch_execz .LBB26_11
; %bb.10:                               ;   in Loop: Header=BB26_7 Depth=2
	v_ashrrev_i32_e32 v9, 31, v6
	v_mul_lo_u32 v10, v6, s21
	v_mad_u64_u32 v[7:8], null, v6, s20, 0
	s_delay_alu instid0(VALU_DEP_3) | instskip(NEXT) | instid1(VALU_DEP_1)
	v_mul_lo_u32 v6, v9, s20
	v_add3_u32 v8, v8, v10, v6
	s_delay_alu instid0(VALU_DEP_1) | instskip(NEXT) | instid1(VALU_DEP_1)
	v_lshlrev_b64 v[6:7], 3, v[7:8]
	v_add_co_u32 v6, s1, v14, v6
	s_delay_alu instid0(VALU_DEP_1)
	v_add_co_ci_u32_e64 v7, s1, v15, v7, s1
	global_load_b64 v[7:8], v[6:7], off
.LBB26_11:                              ;   in Loop: Header=BB26_7 Depth=2
	s_and_not1_saveexec_b32 s1, s15
	s_cbranch_execz .LBB26_13
; %bb.12:                               ;   in Loop: Header=BB26_7 Depth=2
	global_load_b32 v7, v[1:2], off
	s_waitcnt vmcnt(1)
	v_mov_b32_e32 v8, 0
.LBB26_13:                              ;   in Loop: Header=BB26_7 Depth=2
	s_or_b32 exec_lo, exec_lo, s1
                                        ; implicit-def: $vgpr6
.LBB26_14:                              ;   in Loop: Header=BB26_7 Depth=2
	s_and_not1_saveexec_b32 s3, s3
	s_cbranch_execz .LBB26_16
; %bb.15:                               ;   in Loop: Header=BB26_7 Depth=2
	s_waitcnt vmcnt(0)
	v_ashrrev_i32_e32 v7, 31, v6
	s_delay_alu instid0(VALU_DEP_1) | instskip(NEXT) | instid1(VALU_DEP_1)
	v_lshlrev_b64 v[6:7], 3, v[6:7]
	v_add_co_u32 v6, s1, v17, v6
	s_delay_alu instid0(VALU_DEP_1)
	v_add_co_ci_u32_e64 v7, s1, v18, v7, s1
	global_load_b64 v[7:8], v[6:7], off
	s_waitcnt vmcnt(0)
	v_xor_b32_e32 v8, 0x80000000, v8
.LBB26_16:                              ;   in Loop: Header=BB26_7 Depth=2
	s_or_b32 exec_lo, exec_lo, s3
.LBB26_17:                              ;   in Loop: Header=BB26_7 Depth=2
	s_delay_alu instid0(SALU_CYCLE_1) | instskip(SKIP_4) | instid1(VALU_DEP_1)
	s_or_b32 exec_lo, exec_lo, s13
	v_dual_mov_b32 v6, 0 :: v_dual_add_nc_u32 v9, s7, v11
	s_waitcnt vmcnt(0)
	ds_store_b64 v19, v[7:8]
	v_cmp_gt_i32_e64 s1, s37, v9
	s_and_b32 s1, s1, vcc_lo
	s_delay_alu instid0(SALU_CYCLE_1)
	s_and_saveexec_b32 s3, s1
	s_cbranch_execz .LBB26_19
; %bb.18:                               ;   in Loop: Header=BB26_7 Depth=2
	v_ashrrev_i32_e32 v10, 31, v9
	s_delay_alu instid0(VALU_DEP_1) | instskip(NEXT) | instid1(VALU_DEP_1)
	v_lshlrev_b64 v[5:6], 3, v[9:10]
	v_add_co_u32 v5, s1, v23, v5
	s_delay_alu instid0(VALU_DEP_1)
	v_add_co_ci_u32_e64 v6, s1, v24, v6, s1
	global_load_b64 v[5:6], v[5:6], off
.LBB26_19:                              ;   in Loop: Header=BB26_7 Depth=2
	s_or_b32 exec_lo, exec_lo, s3
	s_waitcnt vmcnt(0)
	ds_store_b64 v20, v[5:6]
	s_waitcnt lgkmcnt(0)
	s_barrier
	buffer_gl0_inv
	s_and_saveexec_b32 s1, s6
	s_cbranch_execz .LBB26_6
; %bb.20:                               ;   in Loop: Header=BB26_7 Depth=2
	v_dual_mov_b32 v6, 0 :: v_dual_mov_b32 v5, v16
	v_mov_b32_e32 v7, 0
	s_mov_b32 s3, 0
.LBB26_21:                              ;   Parent Loop BB26_4 Depth=1
                                        ;     Parent Loop BB26_7 Depth=2
                                        ; =>    This Inner Loop Header: Depth=3
	s_delay_alu instid0(SALU_CYCLE_1)
	v_add_nc_u32_e32 v8, s3, v13
	ds_load_2addr_b64 v[25:28], v5 offset1:32
	ds_load_2addr_b64 v[29:32], v5 offset0:64 offset1:96
	ds_load_2addr_b64 v[33:36], v5 offset0:128 offset1:160
	;; [unrolled: 1-line block ×3, first 2 shown]
	ds_load_b128 v[41:44], v8
	ds_load_b128 v[45:48], v8 offset:16
	ds_load_b128 v[49:52], v8 offset:32
	;; [unrolled: 1-line block ×3, first 2 shown]
	s_add_i32 s3, s3, 64
	v_add_nc_u32_e32 v5, 0x800, v5
	s_cmpk_eq_i32 s3, 0x100
	s_waitcnt lgkmcnt(3)
	v_mul_f32_e32 v9, v25, v42
	s_waitcnt lgkmcnt(2)
	v_dual_mul_f32 v8, v26, v42 :: v_dual_mul_f32 v57, v32, v48
	v_mul_f32_e32 v10, v28, v44
	s_delay_alu instid0(VALU_DEP_3) | instskip(NEXT) | instid1(VALU_DEP_3)
	v_dual_mul_f32 v42, v27, v44 :: v_dual_fmac_f32 v9, v26, v41
	v_fma_f32 v8, v25, v41, -v8
	s_waitcnt lgkmcnt(1)
	v_dual_mul_f32 v44, v30, v46 :: v_dual_mul_f32 v25, v36, v52
	s_delay_alu instid0(VALU_DEP_3) | instskip(SKIP_2) | instid1(VALU_DEP_4)
	v_dual_mul_f32 v46, v29, v46 :: v_dual_add_f32 v7, v7, v9
	v_fma_f32 v10, v27, v43, -v10
	v_add_f32_e32 v6, v6, v8
	v_fma_f32 v9, v29, v45, -v44
	s_delay_alu instid0(VALU_DEP_4) | instskip(SKIP_4) | instid1(VALU_DEP_1)
	v_fmac_f32_e32 v46, v30, v45
	v_fma_f32 v26, v31, v47, -v57
	v_fma_f32 v25, v35, v51, -v25
	v_add_f32_e32 v6, v6, v10
	s_waitcnt lgkmcnt(0)
	v_dual_add_f32 v6, v6, v9 :: v_dual_mul_f32 v9, v37, v54
	v_fmac_f32_e32 v42, v28, v43
	v_mul_f32_e32 v48, v31, v48
	s_delay_alu instid0(VALU_DEP_3) | instskip(NEXT) | instid1(VALU_DEP_4)
	v_add_f32_e32 v6, v6, v26
	v_fmac_f32_e32 v9, v38, v53
	s_delay_alu instid0(VALU_DEP_3) | instskip(NEXT) | instid1(VALU_DEP_1)
	v_dual_add_f32 v7, v7, v42 :: v_dual_fmac_f32 v48, v32, v47
	v_dual_mul_f32 v26, v40, v56 :: v_dual_add_f32 v7, v7, v46
	v_mul_f32_e32 v58, v34, v50
	s_delay_alu instid0(VALU_DEP_2) | instskip(NEXT) | instid1(VALU_DEP_2)
	v_dual_mul_f32 v50, v33, v50 :: v_dual_add_f32 v7, v7, v48
	v_fma_f32 v27, v33, v49, -v58
	s_delay_alu instid0(VALU_DEP_1) | instskip(SKIP_1) | instid1(VALU_DEP_4)
	v_dual_add_f32 v6, v6, v27 :: v_dual_mul_f32 v27, v39, v56
	v_mul_f32_e32 v8, v35, v52
	v_fmac_f32_e32 v50, v34, v49
	s_delay_alu instid0(VALU_DEP_3) | instskip(NEXT) | instid1(VALU_DEP_2)
	v_dual_add_f32 v6, v6, v25 :: v_dual_fmac_f32 v27, v40, v55
	v_dual_fmac_f32 v8, v36, v51 :: v_dual_add_f32 v7, v7, v50
	s_delay_alu instid0(VALU_DEP_1) | instskip(SKIP_1) | instid1(VALU_DEP_2)
	v_dual_add_f32 v7, v7, v8 :: v_dual_mul_f32 v10, v38, v54
	v_fma_f32 v8, v39, v55, -v26
	v_add_f32_e32 v7, v7, v9
	s_delay_alu instid0(VALU_DEP_3) | instskip(NEXT) | instid1(VALU_DEP_1)
	v_fma_f32 v10, v37, v53, -v10
	v_dual_add_f32 v7, v7, v27 :: v_dual_add_f32 v6, v6, v10
	s_delay_alu instid0(VALU_DEP_1)
	v_add_f32_e32 v6, v6, v8
	s_cbranch_scc0 .LBB26_21
; %bb.22:                               ;   in Loop: Header=BB26_7 Depth=2
	global_load_b64 v[8:9], v[3:4], off
	v_dual_mul_f32 v5, s12, v7 :: v_dual_mul_f32 v10, s12, v6
	s_delay_alu instid0(VALU_DEP_1) | instskip(SKIP_1) | instid1(VALU_DEP_1)
	v_fma_f32 v5, s39, v6, -v5
	s_waitcnt vmcnt(0)
	v_dual_fmac_f32 v10, s39, v7 :: v_dual_add_f32 v5, v5, v8
	s_delay_alu instid0(VALU_DEP_1)
	v_add_f32_e32 v6, v10, v9
	global_store_b64 v[3:4], v[5:6], off
	s_branch .LBB26_6
.LBB26_23:
	s_endpgm
	.section	.rodata,"a",@progbits
	.p2align	6, 0x0
	.amdhsa_kernel _ZL24rocblas_symm_hemm_kernelILb1ELb0ELi32E19rocblas_complex_numIfEPKS1_PS1_EvbiiT2_T3_lllS6_lllT4_llli
		.amdhsa_group_segment_fixed_size 16384
		.amdhsa_private_segment_fixed_size 0
		.amdhsa_kernarg_size 384
		.amdhsa_user_sgpr_count 13
		.amdhsa_user_sgpr_dispatch_ptr 0
		.amdhsa_user_sgpr_queue_ptr 0
		.amdhsa_user_sgpr_kernarg_segment_ptr 1
		.amdhsa_user_sgpr_dispatch_id 0
		.amdhsa_user_sgpr_private_segment_size 0
		.amdhsa_wavefront_size32 1
		.amdhsa_uses_dynamic_stack 0
		.amdhsa_enable_private_segment 0
		.amdhsa_system_sgpr_workgroup_id_x 1
		.amdhsa_system_sgpr_workgroup_id_y 1
		.amdhsa_system_sgpr_workgroup_id_z 1
		.amdhsa_system_sgpr_workgroup_info 0
		.amdhsa_system_vgpr_workitem_id 1
		.amdhsa_next_free_vgpr 59
		.amdhsa_next_free_sgpr 40
		.amdhsa_reserve_vcc 1
		.amdhsa_float_round_mode_32 0
		.amdhsa_float_round_mode_16_64 0
		.amdhsa_float_denorm_mode_32 3
		.amdhsa_float_denorm_mode_16_64 3
		.amdhsa_dx10_clamp 1
		.amdhsa_ieee_mode 1
		.amdhsa_fp16_overflow 0
		.amdhsa_workgroup_processor_mode 1
		.amdhsa_memory_ordered 1
		.amdhsa_forward_progress 0
		.amdhsa_shared_vgpr_count 0
		.amdhsa_exception_fp_ieee_invalid_op 0
		.amdhsa_exception_fp_denorm_src 0
		.amdhsa_exception_fp_ieee_div_zero 0
		.amdhsa_exception_fp_ieee_overflow 0
		.amdhsa_exception_fp_ieee_underflow 0
		.amdhsa_exception_fp_ieee_inexact 0
		.amdhsa_exception_int_div_zero 0
	.end_amdhsa_kernel
	.section	.text._ZL24rocblas_symm_hemm_kernelILb1ELb0ELi32E19rocblas_complex_numIfEPKS1_PS1_EvbiiT2_T3_lllS6_lllT4_llli,"axG",@progbits,_ZL24rocblas_symm_hemm_kernelILb1ELb0ELi32E19rocblas_complex_numIfEPKS1_PS1_EvbiiT2_T3_lllS6_lllT4_llli,comdat
.Lfunc_end26:
	.size	_ZL24rocblas_symm_hemm_kernelILb1ELb0ELi32E19rocblas_complex_numIfEPKS1_PS1_EvbiiT2_T3_lllS6_lllT4_llli, .Lfunc_end26-_ZL24rocblas_symm_hemm_kernelILb1ELb0ELi32E19rocblas_complex_numIfEPKS1_PS1_EvbiiT2_T3_lllS6_lllT4_llli
                                        ; -- End function
	.section	.AMDGPU.csdata,"",@progbits
; Kernel info:
; codeLenInByte = 1560
; NumSgprs: 42
; NumVgprs: 59
; ScratchSize: 0
; MemoryBound: 0
; FloatMode: 240
; IeeeMode: 1
; LDSByteSize: 16384 bytes/workgroup (compile time only)
; SGPRBlocks: 5
; VGPRBlocks: 7
; NumSGPRsForWavesPerEU: 42
; NumVGPRsForWavesPerEU: 59
; Occupancy: 16
; WaveLimiterHint : 0
; COMPUTE_PGM_RSRC2:SCRATCH_EN: 0
; COMPUTE_PGM_RSRC2:USER_SGPR: 13
; COMPUTE_PGM_RSRC2:TRAP_HANDLER: 0
; COMPUTE_PGM_RSRC2:TGID_X_EN: 1
; COMPUTE_PGM_RSRC2:TGID_Y_EN: 1
; COMPUTE_PGM_RSRC2:TGID_Z_EN: 1
; COMPUTE_PGM_RSRC2:TIDIG_COMP_CNT: 1
	.section	.text._ZL24rocblas_symm_hemm_kernelILb1ELb1ELi32E19rocblas_complex_numIfEPKS1_PS1_EvbiiT2_T3_lllS6_lllT4_llli,"axG",@progbits,_ZL24rocblas_symm_hemm_kernelILb1ELb1ELi32E19rocblas_complex_numIfEPKS1_PS1_EvbiiT2_T3_lllS6_lllT4_llli,comdat
	.globl	_ZL24rocblas_symm_hemm_kernelILb1ELb1ELi32E19rocblas_complex_numIfEPKS1_PS1_EvbiiT2_T3_lllS6_lllT4_llli ; -- Begin function _ZL24rocblas_symm_hemm_kernelILb1ELb1ELi32E19rocblas_complex_numIfEPKS1_PS1_EvbiiT2_T3_lllS6_lllT4_llli
	.p2align	8
	.type	_ZL24rocblas_symm_hemm_kernelILb1ELb1ELi32E19rocblas_complex_numIfEPKS1_PS1_EvbiiT2_T3_lllS6_lllT4_llli,@function
_ZL24rocblas_symm_hemm_kernelILb1ELb1ELi32E19rocblas_complex_numIfEPKS1_PS1_EvbiiT2_T3_lllS6_lllT4_llli: ; @_ZL24rocblas_symm_hemm_kernelILb1ELb1ELi32E19rocblas_complex_numIfEPKS1_PS1_EvbiiT2_T3_lllS6_lllT4_llli
; %bb.0:
	s_clause 0x1
	s_load_b128 s[36:39], s[0:1], 0x0
	s_load_b32 s3, s[0:1], 0x10
	s_waitcnt lgkmcnt(0)
	v_cmp_eq_f32_e64 s2, s39, 0
	v_cmp_eq_f32_e64 s4, s3, 0
	s_delay_alu instid0(VALU_DEP_1) | instskip(NEXT) | instid1(SALU_CYCLE_1)
	s_and_b32 s2, s2, s4
	s_and_b32 vcc_lo, exec_lo, s2
	s_cbranch_vccnz .LBB27_23
; %bb.1:
	s_add_i32 s2, s38, -1
	s_delay_alu instid0(SALU_CYCLE_1) | instskip(NEXT) | instid1(SALU_CYCLE_1)
	s_ashr_i32 s4, s2, 31
	s_lshr_b32 s4, s4, 27
	s_delay_alu instid0(SALU_CYCLE_1) | instskip(NEXT) | instid1(SALU_CYCLE_1)
	s_add_i32 s2, s2, s4
	s_ashr_i32 s12, s2, 5
	s_delay_alu instid0(SALU_CYCLE_1)
	s_cmp_gt_i32 s14, s12
	s_cbranch_scc1 .LBB27_23
; %bb.2:
	s_clause 0x1
	s_load_b512 s[16:31], s[0:1], 0x18
	s_load_b256 s[4:11], s[0:1], 0x58
	v_and_b32_e32 v10, 0x3ff, v0
	v_bfe_u32 v11, v0, 10, 10
	s_delay_alu instid0(VALU_DEP_2) | instskip(SKIP_1) | instid1(VALU_DEP_2)
	v_lshl_add_u32 v0, s13, 5, v10
	s_load_b32 s13, s[0:1], 0x84
	v_lshlrev_b32_e32 v2, 3, v11
	v_lshlrev_b32_e32 v12, 8, v10
	s_delay_alu instid0(VALU_DEP_3) | instskip(SKIP_1) | instid1(VALU_DEP_4)
	v_ashrrev_i32_e32 v1, 31, v0
	v_cmp_gt_i32_e64 s0, s37, v0
	v_or_b32_e32 v14, 0x2000, v2
	s_delay_alu instid0(VALU_DEP_4) | instskip(NEXT) | instid1(VALU_DEP_4)
	v_add_nc_u32_e32 v13, v12, v2
	v_lshlrev_b64 v[0:1], 3, v[0:1]
	s_delay_alu instid0(VALU_DEP_3)
	v_add_nc_u32_e32 v15, v14, v12
	s_waitcnt lgkmcnt(0)
	s_mul_i32 s1, s15, s23
	s_mul_hi_u32 s2, s15, s22
	s_mul_i32 s22, s15, s22
	s_add_i32 s23, s2, s1
	s_mul_i32 s2, s15, s11
	s_lshl_b64 s[22:23], s[22:23], 3
	s_delay_alu instid0(SALU_CYCLE_1)
	s_add_u32 s1, s16, s22
	s_addc_u32 s22, s17, s23
	s_lshl_b64 s[16:17], s[18:19], 3
	s_mul_hi_u32 s19, s15, s10
	s_add_u32 s11, s1, s16
	s_addc_u32 s16, s22, s17
	s_bitcmp1_b32 s36, 0
	s_mul_i32 s18, s15, s10
	s_cselect_b32 s1, -1, 0
	s_add_i32 s19, s19, s2
	s_mul_i32 s2, s15, s31
	s_lshl_b64 s[18:19], s[18:19], 3
	s_mul_hi_u32 s10, s15, s30
	s_add_u32 s17, s4, s18
	s_addc_u32 s18, s5, s19
	s_lshl_b64 s[4:5], s[6:7], 3
	s_mul_i32 s6, s15, s30
	s_add_u32 s15, s17, s4
	s_addc_u32 s17, s18, s5
	s_add_i32 s7, s10, s2
	s_delay_alu instid0(SALU_CYCLE_1) | instskip(NEXT) | instid1(SALU_CYCLE_1)
	s_lshl_b64 s[4:5], s[6:7], 3
	s_add_u32 s2, s24, s4
	s_addc_u32 s6, s25, s5
	s_lshl_b64 s[4:5], s[26:27], 3
	s_delay_alu instid0(SALU_CYCLE_1)
	s_add_u32 s2, s2, s4
	s_addc_u32 s4, s6, s5
	v_add_co_u32 v16, vcc_lo, s2, v0
	v_add_co_ci_u32_e32 v17, vcc_lo, s4, v1, vcc_lo
	v_add_co_u32 v18, vcc_lo, s15, v0
	v_add_co_ci_u32_e32 v19, vcc_lo, s17, v1, vcc_lo
	s_cmp_gt_i32 s38, 0
	s_cselect_b32 s4, -1, 0
	s_branch .LBB27_4
.LBB27_3:                               ;   in Loop: Header=BB27_4 Depth=1
	s_add_i32 s14, s14, s13
	s_delay_alu instid0(SALU_CYCLE_1)
	s_cmp_gt_i32 s14, s12
	s_cbranch_scc1 .LBB27_23
.LBB27_4:                               ; =>This Loop Header: Depth=1
                                        ;     Child Loop BB27_7 Depth 2
                                        ;       Child Loop BB27_21 Depth 3
	s_and_not1_b32 vcc_lo, exec_lo, s4
	s_cbranch_vccnz .LBB27_3
; %bb.5:                                ;   in Loop: Header=BB27_4 Depth=1
	v_lshl_add_u32 v0, s14, 5, v11
	s_mov_b32 s6, 0
	s_delay_alu instid0(VALU_DEP_1) | instskip(SKIP_3) | instid1(VALU_DEP_4)
	v_ashrrev_i32_e32 v1, 31, v0
	v_mul_lo_u32 v6, v0, s21
	v_mad_u64_u32 v[2:3], null, v0, s20, 0
	v_mul_lo_u32 v8, v0, s9
	v_mul_lo_u32 v7, v1, s20
	v_mad_u64_u32 v[4:5], null, v0, s8, 0
	v_mul_lo_u32 v9, v1, s8
	v_cmp_gt_i32_e32 vcc_lo, s38, v0
	s_delay_alu instid0(VALU_DEP_4) | instskip(SKIP_2) | instid1(VALU_DEP_4)
	v_add3_u32 v3, v3, v6, v7
	v_lshlrev_b64 v[6:7], 3, v[0:1]
	s_and_b32 s5, s0, vcc_lo
	v_add3_u32 v5, v5, v8, v9
	s_delay_alu instid0(VALU_DEP_3) | instskip(NEXT) | instid1(VALU_DEP_3)
	v_lshlrev_b64 v[1:2], 3, v[2:3]
	v_add_co_u32 v20, s2, s11, v6
	s_delay_alu instid0(VALU_DEP_3) | instskip(SKIP_1) | instid1(VALU_DEP_4)
	v_lshlrev_b64 v[3:4], 3, v[4:5]
	v_add_co_ci_u32_e64 v21, s2, s16, v7, s2
	v_add_co_u32 v22, s2, s11, v1
	s_delay_alu instid0(VALU_DEP_1) | instskip(NEXT) | instid1(VALU_DEP_4)
	v_add_co_ci_u32_e64 v23, s2, s16, v2, s2
	v_add_co_u32 v1, s2, v18, v3
	s_delay_alu instid0(VALU_DEP_1) | instskip(NEXT) | instid1(VALU_DEP_4)
	v_add_co_ci_u32_e64 v2, s2, v19, v4, s2
	v_add_co_u32 v3, s2, v22, v6
	s_delay_alu instid0(VALU_DEP_1)
	v_add_co_ci_u32_e64 v4, s2, v23, v7, s2
	s_branch .LBB27_7
.LBB27_6:                               ;   in Loop: Header=BB27_7 Depth=2
	s_or_b32 exec_lo, exec_lo, s2
	s_add_i32 s6, s6, 32
	s_waitcnt_vscnt null, 0x0
	s_cmp_ge_i32 s6, s38
	s_barrier
	buffer_gl0_inv
	s_cbranch_scc1 .LBB27_3
.LBB27_7:                               ;   Parent Loop BB27_4 Depth=1
                                        ; =>  This Loop Header: Depth=2
                                        ;       Child Loop BB27_21 Depth 3
	v_dual_mov_b32 v5, 0 :: v_dual_add_nc_u32 v6, s6, v11
	v_dual_mov_b32 v8, 0 :: v_dual_mov_b32 v9, 0
	s_delay_alu instid0(VALU_DEP_2) | instskip(SKIP_1) | instid1(SALU_CYCLE_1)
	v_cmp_gt_i32_e32 vcc_lo, s38, v6
	s_and_b32 s7, s0, vcc_lo
	s_and_saveexec_b32 s2, s7
	s_cbranch_execz .LBB27_9
; %bb.8:                                ;   in Loop: Header=BB27_7 Depth=2
	v_ashrrev_i32_e32 v9, 31, v6
	v_mul_lo_u32 v24, v6, s29
	v_mad_u64_u32 v[7:8], null, v6, s28, 0
	s_delay_alu instid0(VALU_DEP_3) | instskip(NEXT) | instid1(VALU_DEP_1)
	v_mul_lo_u32 v6, v9, s28
	v_add3_u32 v8, v8, v24, v6
	s_delay_alu instid0(VALU_DEP_1) | instskip(NEXT) | instid1(VALU_DEP_1)
	v_lshlrev_b64 v[6:7], 3, v[7:8]
	v_add_co_u32 v6, vcc_lo, v16, v6
	s_delay_alu instid0(VALU_DEP_2)
	v_add_co_ci_u32_e32 v7, vcc_lo, v17, v7, vcc_lo
	global_load_b64 v[8:9], v[6:7], off
.LBB27_9:                               ;   in Loop: Header=BB27_7 Depth=2
	s_or_b32 exec_lo, exec_lo, s2
	v_add_nc_u32_e32 v7, s6, v10
	s_mov_b32 s7, exec_lo
	s_waitcnt vmcnt(0)
	ds_store_b64 v13, v[8:9]
	v_cndmask_b32_e64 v6, v0, v7, s1
	v_cndmask_b32_e64 v24, v7, v0, s1
	s_delay_alu instid0(VALU_DEP_1) | instskip(SKIP_3) | instid1(VALU_DEP_3)
	v_cmp_gt_i32_e32 vcc_lo, v6, v24
	v_dual_cndmask_b32 v25, v7, v0 :: v_dual_cndmask_b32 v26, v0, v7
	v_cmp_le_i32_e32 vcc_lo, v6, v24
	v_mov_b32_e32 v6, 0
	v_max_i32_e32 v25, v25, v26
	s_delay_alu instid0(VALU_DEP_1)
	v_cmpx_gt_i32_e64 s38, v25
	s_cbranch_execz .LBB27_19
; %bb.10:                               ;   in Loop: Header=BB27_7 Depth=2
                                        ; implicit-def: $vgpr6
	s_and_saveexec_b32 s2, vcc_lo
	s_delay_alu instid0(SALU_CYCLE_1)
	s_xor_b32 s2, exec_lo, s2
	s_cbranch_execz .LBB27_16
; %bb.11:                               ;   in Loop: Header=BB27_7 Depth=2
	s_mov_b32 s10, exec_lo
                                        ; implicit-def: $vgpr6
	v_cmpx_ne_u32_e64 v7, v0
	s_xor_b32 s10, exec_lo, s10
	s_cbranch_execz .LBB27_13
; %bb.12:                               ;   in Loop: Header=BB27_7 Depth=2
	v_ashrrev_i32_e32 v8, 31, v7
	s_delay_alu instid0(VALU_DEP_1) | instskip(NEXT) | instid1(VALU_DEP_1)
	v_lshlrev_b64 v[5:6], 3, v[7:8]
	v_add_co_u32 v5, vcc_lo, v22, v5
	s_delay_alu instid0(VALU_DEP_2)
	v_add_co_ci_u32_e32 v6, vcc_lo, v23, v6, vcc_lo
	global_load_b64 v[5:6], v[5:6], off
.LBB27_13:                              ;   in Loop: Header=BB27_7 Depth=2
	s_and_not1_saveexec_b32 s10, s10
	s_cbranch_execz .LBB27_15
; %bb.14:                               ;   in Loop: Header=BB27_7 Depth=2
	global_load_b32 v5, v[3:4], off
	s_waitcnt vmcnt(1)
	v_mov_b32_e32 v6, 0
.LBB27_15:                              ;   in Loop: Header=BB27_7 Depth=2
	s_or_b32 exec_lo, exec_lo, s10
                                        ; implicit-def: $vgpr7
.LBB27_16:                              ;   in Loop: Header=BB27_7 Depth=2
	s_and_not1_saveexec_b32 s2, s2
	s_cbranch_execz .LBB27_18
; %bb.17:                               ;   in Loop: Header=BB27_7 Depth=2
	v_ashrrev_i32_e32 v8, 31, v7
	v_mul_lo_u32 v9, v7, s21
	s_waitcnt vmcnt(0)
	v_mad_u64_u32 v[5:6], null, v7, s20, 0
	s_delay_alu instid0(VALU_DEP_3) | instskip(NEXT) | instid1(VALU_DEP_1)
	v_mul_lo_u32 v7, v8, s20
	v_add3_u32 v6, v6, v9, v7
	s_delay_alu instid0(VALU_DEP_1) | instskip(NEXT) | instid1(VALU_DEP_1)
	v_lshlrev_b64 v[5:6], 3, v[5:6]
	v_add_co_u32 v5, vcc_lo, v20, v5
	s_delay_alu instid0(VALU_DEP_2)
	v_add_co_ci_u32_e32 v6, vcc_lo, v21, v6, vcc_lo
	global_load_b64 v[5:6], v[5:6], off
	s_waitcnt vmcnt(0)
	v_xor_b32_e32 v6, 0x80000000, v6
.LBB27_18:                              ;   in Loop: Header=BB27_7 Depth=2
	s_or_b32 exec_lo, exec_lo, s2
.LBB27_19:                              ;   in Loop: Header=BB27_7 Depth=2
	s_delay_alu instid0(SALU_CYCLE_1)
	s_or_b32 exec_lo, exec_lo, s7
	s_waitcnt vmcnt(0)
	ds_store_b64 v15, v[5:6]
	s_waitcnt lgkmcnt(0)
	s_barrier
	buffer_gl0_inv
	s_and_saveexec_b32 s2, s5
	s_cbranch_execz .LBB27_6
; %bb.20:                               ;   in Loop: Header=BB27_7 Depth=2
	v_dual_mov_b32 v6, 0 :: v_dual_mov_b32 v5, v14
	v_mov_b32_e32 v7, 0
	s_mov_b32 s7, 0
.LBB27_21:                              ;   Parent Loop BB27_4 Depth=1
                                        ;     Parent Loop BB27_7 Depth=2
                                        ; =>    This Inner Loop Header: Depth=3
	s_delay_alu instid0(SALU_CYCLE_1)
	v_add_nc_u32_e32 v8, s7, v12
	ds_load_2addr_b64 v[24:27], v5 offset1:32
	ds_load_2addr_b64 v[28:31], v5 offset0:64 offset1:96
	ds_load_2addr_b64 v[32:35], v5 offset0:128 offset1:160
	;; [unrolled: 1-line block ×3, first 2 shown]
	ds_load_b128 v[40:43], v8
	ds_load_b128 v[44:47], v8 offset:16
	ds_load_b128 v[48:51], v8 offset:32
	;; [unrolled: 1-line block ×3, first 2 shown]
	v_add_nc_u32_e32 v5, 0x800, v5
	s_add_i32 s7, s7, 64
	s_delay_alu instid0(SALU_CYCLE_1)
	s_cmpk_eq_i32 s7, 0x100
	s_waitcnt lgkmcnt(3)
	v_mul_f32_e32 v9, v24, v41
	v_dual_mul_f32 v8, v25, v41 :: v_dual_mul_f32 v41, v27, v43
	s_waitcnt lgkmcnt(2)
	v_dual_mul_f32 v43, v26, v43 :: v_dual_mul_f32 v56, v29, v45
	s_waitcnt lgkmcnt(1)
	v_dual_mul_f32 v57, v31, v47 :: v_dual_mul_f32 v58, v33, v49
	v_fma_f32 v8, v24, v40, -v8
	v_mul_f32_e32 v49, v32, v49
	v_fmac_f32_e32 v9, v25, v40
	v_fma_f32 v25, v26, v42, -v41
	v_dual_mul_f32 v45, v28, v45 :: v_dual_mul_f32 v24, v35, v51
	v_dual_add_f32 v6, v6, v8 :: v_dual_fmac_f32 v43, v27, v42
	v_mul_f32_e32 v8, v34, v51
	v_fma_f32 v26, v30, v46, -v57
	v_add_f32_e32 v7, v7, v9
	v_fma_f32 v9, v28, v44, -v56
	v_dual_add_f32 v6, v6, v25 :: v_dual_fmac_f32 v45, v29, v44
	v_dual_mul_f32 v47, v30, v47 :: v_dual_fmac_f32 v8, v35, v50
	v_fma_f32 v27, v32, v48, -v58
	s_delay_alu instid0(VALU_DEP_3) | instskip(SKIP_3) | instid1(VALU_DEP_3)
	v_add_f32_e32 v6, v6, v9
	s_waitcnt lgkmcnt(0)
	v_mul_f32_e32 v25, v37, v53
	v_fma_f32 v24, v34, v50, -v24
	v_dual_mul_f32 v9, v36, v53 :: v_dual_add_f32 v6, v6, v26
	v_mul_f32_e32 v26, v39, v55
	v_fmac_f32_e32 v47, v31, v46
	v_fma_f32 v25, v36, v52, -v25
	s_delay_alu instid0(VALU_DEP_4) | instskip(SKIP_2) | instid1(VALU_DEP_3)
	v_dual_fmac_f32 v9, v37, v52 :: v_dual_add_f32 v6, v6, v27
	v_add_f32_e32 v7, v7, v43
	v_mul_f32_e32 v27, v38, v55
	v_add_f32_e32 v6, v6, v24
	v_fmac_f32_e32 v49, v33, v48
	s_delay_alu instid0(VALU_DEP_2) | instskip(SKIP_1) | instid1(VALU_DEP_1)
	v_dual_fmac_f32 v27, v39, v54 :: v_dual_add_f32 v6, v6, v25
	v_add_f32_e32 v7, v7, v45
	v_add_f32_e32 v7, v7, v47
	s_delay_alu instid0(VALU_DEP_1) | instskip(NEXT) | instid1(VALU_DEP_1)
	v_add_f32_e32 v7, v7, v49
	v_add_f32_e32 v7, v7, v8
	v_fma_f32 v8, v38, v54, -v26
	s_delay_alu instid0(VALU_DEP_1) | instskip(NEXT) | instid1(VALU_DEP_1)
	v_dual_add_f32 v7, v7, v9 :: v_dual_add_f32 v6, v6, v8
	v_add_f32_e32 v7, v7, v27
	s_cbranch_scc0 .LBB27_21
; %bb.22:                               ;   in Loop: Header=BB27_7 Depth=2
	global_load_b64 v[8:9], v[1:2], off
	v_dual_mul_f32 v5, s3, v7 :: v_dual_mul_f32 v24, s3, v6
	s_delay_alu instid0(VALU_DEP_1) | instskip(SKIP_1) | instid1(VALU_DEP_1)
	v_fma_f32 v5, s39, v6, -v5
	s_waitcnt vmcnt(0)
	v_dual_fmac_f32 v24, s39, v7 :: v_dual_add_f32 v5, v5, v8
	s_delay_alu instid0(VALU_DEP_1)
	v_add_f32_e32 v6, v24, v9
	global_store_b64 v[1:2], v[5:6], off
	s_branch .LBB27_6
.LBB27_23:
	s_endpgm
	.section	.rodata,"a",@progbits
	.p2align	6, 0x0
	.amdhsa_kernel _ZL24rocblas_symm_hemm_kernelILb1ELb1ELi32E19rocblas_complex_numIfEPKS1_PS1_EvbiiT2_T3_lllS6_lllT4_llli
		.amdhsa_group_segment_fixed_size 16384
		.amdhsa_private_segment_fixed_size 0
		.amdhsa_kernarg_size 384
		.amdhsa_user_sgpr_count 13
		.amdhsa_user_sgpr_dispatch_ptr 0
		.amdhsa_user_sgpr_queue_ptr 0
		.amdhsa_user_sgpr_kernarg_segment_ptr 1
		.amdhsa_user_sgpr_dispatch_id 0
		.amdhsa_user_sgpr_private_segment_size 0
		.amdhsa_wavefront_size32 1
		.amdhsa_uses_dynamic_stack 0
		.amdhsa_enable_private_segment 0
		.amdhsa_system_sgpr_workgroup_id_x 1
		.amdhsa_system_sgpr_workgroup_id_y 1
		.amdhsa_system_sgpr_workgroup_id_z 1
		.amdhsa_system_sgpr_workgroup_info 0
		.amdhsa_system_vgpr_workitem_id 1
		.amdhsa_next_free_vgpr 59
		.amdhsa_next_free_sgpr 40
		.amdhsa_reserve_vcc 1
		.amdhsa_float_round_mode_32 0
		.amdhsa_float_round_mode_16_64 0
		.amdhsa_float_denorm_mode_32 3
		.amdhsa_float_denorm_mode_16_64 3
		.amdhsa_dx10_clamp 1
		.amdhsa_ieee_mode 1
		.amdhsa_fp16_overflow 0
		.amdhsa_workgroup_processor_mode 1
		.amdhsa_memory_ordered 1
		.amdhsa_forward_progress 0
		.amdhsa_shared_vgpr_count 0
		.amdhsa_exception_fp_ieee_invalid_op 0
		.amdhsa_exception_fp_denorm_src 0
		.amdhsa_exception_fp_ieee_div_zero 0
		.amdhsa_exception_fp_ieee_overflow 0
		.amdhsa_exception_fp_ieee_underflow 0
		.amdhsa_exception_fp_ieee_inexact 0
		.amdhsa_exception_int_div_zero 0
	.end_amdhsa_kernel
	.section	.text._ZL24rocblas_symm_hemm_kernelILb1ELb1ELi32E19rocblas_complex_numIfEPKS1_PS1_EvbiiT2_T3_lllS6_lllT4_llli,"axG",@progbits,_ZL24rocblas_symm_hemm_kernelILb1ELb1ELi32E19rocblas_complex_numIfEPKS1_PS1_EvbiiT2_T3_lllS6_lllT4_llli,comdat
.Lfunc_end27:
	.size	_ZL24rocblas_symm_hemm_kernelILb1ELb1ELi32E19rocblas_complex_numIfEPKS1_PS1_EvbiiT2_T3_lllS6_lllT4_llli, .Lfunc_end27-_ZL24rocblas_symm_hemm_kernelILb1ELb1ELi32E19rocblas_complex_numIfEPKS1_PS1_EvbiiT2_T3_lllS6_lllT4_llli
                                        ; -- End function
	.section	.AMDGPU.csdata,"",@progbits
; Kernel info:
; codeLenInByte = 1536
; NumSgprs: 42
; NumVgprs: 59
; ScratchSize: 0
; MemoryBound: 0
; FloatMode: 240
; IeeeMode: 1
; LDSByteSize: 16384 bytes/workgroup (compile time only)
; SGPRBlocks: 5
; VGPRBlocks: 7
; NumSGPRsForWavesPerEU: 42
; NumVGPRsForWavesPerEU: 59
; Occupancy: 16
; WaveLimiterHint : 0
; COMPUTE_PGM_RSRC2:SCRATCH_EN: 0
; COMPUTE_PGM_RSRC2:USER_SGPR: 13
; COMPUTE_PGM_RSRC2:TRAP_HANDLER: 0
; COMPUTE_PGM_RSRC2:TGID_X_EN: 1
; COMPUTE_PGM_RSRC2:TGID_Y_EN: 1
; COMPUTE_PGM_RSRC2:TGID_Z_EN: 1
; COMPUTE_PGM_RSRC2:TIDIG_COMP_CNT: 1
	.section	.text._ZL24rocblas_symm_hemm_kernelILb1ELb0ELi32EPK19rocblas_complex_numIdES3_PS1_EvbiiT2_T3_lllS6_lllT4_llli,"axG",@progbits,_ZL24rocblas_symm_hemm_kernelILb1ELb0ELi32EPK19rocblas_complex_numIdES3_PS1_EvbiiT2_T3_lllS6_lllT4_llli,comdat
	.globl	_ZL24rocblas_symm_hemm_kernelILb1ELb0ELi32EPK19rocblas_complex_numIdES3_PS1_EvbiiT2_T3_lllS6_lllT4_llli ; -- Begin function _ZL24rocblas_symm_hemm_kernelILb1ELb0ELi32EPK19rocblas_complex_numIdES3_PS1_EvbiiT2_T3_lllS6_lllT4_llli
	.p2align	8
	.type	_ZL24rocblas_symm_hemm_kernelILb1ELb0ELi32EPK19rocblas_complex_numIdES3_PS1_EvbiiT2_T3_lllS6_lllT4_llli,@function
_ZL24rocblas_symm_hemm_kernelILb1ELb0ELi32EPK19rocblas_complex_numIdES3_PS1_EvbiiT2_T3_lllS6_lllT4_llli: ; @_ZL24rocblas_symm_hemm_kernelILb1ELb0ELi32EPK19rocblas_complex_numIdES3_PS1_EvbiiT2_T3_lllS6_lllT4_llli
; %bb.0:
	s_load_b512 s[16:31], s[0:1], 0x10
	s_waitcnt lgkmcnt(0)
	s_load_b128 s[36:39], s[16:17], 0x0
	s_waitcnt lgkmcnt(0)
	v_cmp_eq_f64_e64 s2, s[36:37], 0
	v_cmp_eq_f64_e64 s3, s[38:39], 0
	s_delay_alu instid0(VALU_DEP_1) | instskip(NEXT) | instid1(SALU_CYCLE_1)
	s_and_b32 s2, s2, s3
	s_and_b32 vcc_lo, exec_lo, s2
	s_cbranch_vccnz .LBB28_23
; %bb.1:
	s_load_b128 s[40:43], s[0:1], 0x0
	s_waitcnt lgkmcnt(0)
	s_add_i32 s2, s42, -1
	s_delay_alu instid0(SALU_CYCLE_1) | instskip(NEXT) | instid1(SALU_CYCLE_1)
	s_ashr_i32 s3, s2, 31
	s_lshr_b32 s3, s3, 27
	s_delay_alu instid0(SALU_CYCLE_1) | instskip(NEXT) | instid1(SALU_CYCLE_1)
	s_add_i32 s2, s2, s3
	s_ashr_i32 s12, s2, 5
	s_delay_alu instid0(SALU_CYCLE_1)
	s_cmp_gt_i32 s14, s12
	s_cbranch_scc1 .LBB28_23
; %bb.2:
	s_clause 0x1
	s_load_b256 s[4:11], s[0:1], 0x50
	s_load_b64 s[2:3], s[0:1], 0x70
	v_and_b32_e32 v15, 0x3ff, v0
	s_mul_i32 s17, s15, s25
	s_mul_hi_u32 s25, s15, s24
	s_mul_i32 s16, s15, s24
	v_bfe_u32 v16, v0, 10, 10
	v_lshl_add_u32 v8, s13, 5, v15
	s_load_b32 s13, s[0:1], 0x84
	v_lshlrev_b32_e32 v19, 9, v15
	s_delay_alu instid0(VALU_DEP_3) | instskip(NEXT) | instid1(VALU_DEP_3)
	v_lshlrev_b32_e32 v4, 4, v16
	v_ashrrev_i32_e32 v9, 31, v8
	v_mul_lo_u32 v2, v8, s23
	v_mad_u64_u32 v[0:1], null, v8, s22, 0
	s_delay_alu instid0(VALU_DEP_4) | instskip(NEXT) | instid1(VALU_DEP_4)
	v_or_b32_e32 v20, 0x4000, v4
	v_mul_lo_u32 v3, v9, s22
	v_add_nc_u32_e32 v23, v19, v4
	s_waitcnt lgkmcnt(0)
	s_mul_i32 s1, s15, s5
	s_mul_hi_u32 s5, s15, s4
	s_mul_i32 s0, s15, s4
	s_add_i32 s1, s5, s1
	s_mul_i32 s3, s15, s3
	s_lshl_b64 s[0:1], s[0:1], 4
	s_mul_hi_u32 s24, s15, s2
	s_add_u32 s4, s26, s0
	s_addc_u32 s5, s27, s1
	s_lshl_b64 s[0:1], s[28:29], 4
	s_mul_i32 s2, s15, s2
	s_add_u32 s4, s4, s0
	s_addc_u32 s5, s5, s1
	s_bitcmp1_b32 s40, 0
	v_add3_u32 v1, v1, v2, v3
	s_cselect_b32 s0, -1, 0
	s_add_i32 s3, s24, s3
	v_lshlrev_b64 v[2:3], 4, v[8:9]
	s_lshl_b64 s[2:3], s[2:3], 4
	v_lshlrev_b64 v[0:1], 4, v[0:1]
	s_add_u32 s1, s6, s2
	s_addc_u32 s6, s7, s3
	s_lshl_b64 s[2:3], s[8:9], 4
	v_add_nc_u32_e32 v24, v20, v19
	s_add_u32 s7, s1, s2
	s_addc_u32 s6, s6, s3
	s_add_i32 s17, s25, s17
	s_delay_alu instid0(SALU_CYCLE_1) | instskip(NEXT) | instid1(SALU_CYCLE_1)
	s_lshl_b64 s[2:3], s[16:17], 4
	s_add_u32 s1, s18, s2
	s_addc_u32 s8, s19, s3
	s_lshl_b64 s[2:3], s[20:21], 4
	s_delay_alu instid0(SALU_CYCLE_1)
	s_add_u32 s1, s1, s2
	s_addc_u32 s2, s8, s3
	v_add_co_u32 v17, vcc_lo, s1, v2
	v_add_co_ci_u32_e32 v18, vcc_lo, s2, v3, vcc_lo
	v_add_co_u32 v21, vcc_lo, s1, v0
	v_add_co_ci_u32_e32 v22, vcc_lo, s2, v1, vcc_lo
	;; [unrolled: 2-line block ×3, first 2 shown]
	v_add_co_u32 v9, vcc_lo, v17, v0
	v_cmp_gt_i32_e64 s1, s41, v8
	v_add_co_ci_u32_e32 v10, vcc_lo, v18, v1, vcc_lo
	s_cmp_gt_i32 s41, 0
	s_cselect_b32 s6, -1, 0
	s_branch .LBB28_4
.LBB28_3:                               ;   in Loop: Header=BB28_4 Depth=1
	s_add_i32 s14, s14, s13
	s_delay_alu instid0(SALU_CYCLE_1)
	s_cmp_gt_i32 s14, s12
	s_cbranch_scc1 .LBB28_23
.LBB28_4:                               ; =>This Loop Header: Depth=1
                                        ;     Child Loop BB28_7 Depth 2
                                        ;       Child Loop BB28_21 Depth 3
	s_and_not1_b32 vcc_lo, exec_lo, s6
	s_cbranch_vccnz .LBB28_3
; %bb.5:                                ;   in Loop: Header=BB28_4 Depth=1
	v_lshl_add_u32 v4, s14, 5, v16
	s_mov_b32 s8, 0
	s_delay_alu instid0(VALU_DEP_1) | instskip(SKIP_3) | instid1(VALU_DEP_4)
	v_ashrrev_i32_e32 v5, 31, v4
	v_mul_lo_u32 v6, v4, s31
	v_mad_u64_u32 v[0:1], null, v4, s30, 0
	v_mul_lo_u32 v11, v4, s11
	v_mul_lo_u32 v7, v5, s30
	v_mad_u64_u32 v[2:3], null, v4, s10, 0
	v_mul_lo_u32 v5, v5, s10
	v_cmp_gt_i32_e32 vcc_lo, s42, v4
	s_delay_alu instid0(VALU_DEP_4) | instskip(SKIP_1) | instid1(VALU_DEP_3)
	v_add3_u32 v1, v1, v6, v7
	s_and_b32 s7, s1, vcc_lo
	v_add3_u32 v3, v3, v11, v5
	s_delay_alu instid0(VALU_DEP_2) | instskip(NEXT) | instid1(VALU_DEP_2)
	v_lshlrev_b64 v[0:1], 4, v[0:1]
	v_lshlrev_b64 v[2:3], 4, v[2:3]
	s_delay_alu instid0(VALU_DEP_2) | instskip(NEXT) | instid1(VALU_DEP_1)
	v_add_co_u32 v27, s2, s4, v0
	v_add_co_ci_u32_e64 v28, s2, s5, v1, s2
	s_delay_alu instid0(VALU_DEP_3) | instskip(NEXT) | instid1(VALU_DEP_1)
	v_add_co_u32 v11, s2, v25, v2
	v_add_co_ci_u32_e64 v12, s2, v26, v3, s2
	s_branch .LBB28_7
.LBB28_6:                               ;   in Loop: Header=BB28_7 Depth=2
	s_or_b32 exec_lo, exec_lo, s2
	s_add_i32 s8, s8, 32
	s_waitcnt_vscnt null, 0x0
	s_cmp_ge_i32 s8, s41
	s_barrier
	buffer_gl0_inv
	s_cbranch_scc1 .LBB28_3
.LBB28_7:                               ;   Parent Loop BB28_4 Depth=1
                                        ; =>  This Loop Header: Depth=2
                                        ;       Child Loop BB28_21 Depth 3
	v_add_nc_u32_e32 v2, s8, v16
	v_mov_b32_e32 v0, 0
	v_mov_b32_e32 v1, 0
	s_delay_alu instid0(VALU_DEP_3) | instskip(SKIP_1) | instid1(VALU_DEP_1)
	v_cndmask_b32_e64 v3, v2, v8, s0
	v_cndmask_b32_e64 v6, v8, v2, s0
	v_cmp_gt_i32_e64 s2, v3, v6
	s_delay_alu instid0(VALU_DEP_1) | instskip(SKIP_2) | instid1(VALU_DEP_2)
	v_cndmask_b32_e64 v4, v8, v2, s2
	v_cndmask_b32_e64 v5, v2, v8, s2
	v_cmp_le_i32_e64 s2, v3, v6
	v_max_i32_e32 v7, v4, v5
	v_dual_mov_b32 v5, v1 :: v_dual_mov_b32 v4, v0
	s_delay_alu instid0(VALU_DEP_2) | instskip(SKIP_1) | instid1(VALU_DEP_2)
	v_cmp_gt_i32_e64 s3, s41, v7
	v_dual_mov_b32 v7, v1 :: v_dual_mov_b32 v6, v0
	s_and_saveexec_b32 s9, s3
	s_cbranch_execz .LBB28_17
; %bb.8:                                ;   in Loop: Header=BB28_7 Depth=2
                                        ; implicit-def: $vgpr6_vgpr7
	s_and_saveexec_b32 s3, s2
	s_delay_alu instid0(SALU_CYCLE_1)
	s_xor_b32 s3, exec_lo, s3
	s_cbranch_execz .LBB28_14
; %bb.9:                                ;   in Loop: Header=BB28_7 Depth=2
	s_mov_b32 s15, exec_lo
                                        ; implicit-def: $vgpr6_vgpr7
	v_cmpx_ne_u32_e64 v8, v2
	s_xor_b32 s15, exec_lo, s15
	s_cbranch_execz .LBB28_11
; %bb.10:                               ;   in Loop: Header=BB28_7 Depth=2
	v_ashrrev_i32_e32 v5, 31, v2
	v_mul_lo_u32 v6, v2, s23
	v_mad_u64_u32 v[3:4], null, v2, s22, 0
	s_delay_alu instid0(VALU_DEP_3) | instskip(NEXT) | instid1(VALU_DEP_1)
	v_mul_lo_u32 v2, v5, s22
	v_add3_u32 v4, v4, v6, v2
	s_delay_alu instid0(VALU_DEP_1) | instskip(NEXT) | instid1(VALU_DEP_1)
	v_lshlrev_b64 v[2:3], 4, v[3:4]
	v_add_co_u32 v2, s2, v17, v2
	s_delay_alu instid0(VALU_DEP_1)
	v_add_co_ci_u32_e64 v3, s2, v18, v3, s2
	global_load_b128 v[4:7], v[2:3], off
.LBB28_11:                              ;   in Loop: Header=BB28_7 Depth=2
	s_and_not1_saveexec_b32 s2, s15
	s_cbranch_execz .LBB28_13
; %bb.12:                               ;   in Loop: Header=BB28_7 Depth=2
	global_load_b64 v[4:5], v[9:10], off
	s_waitcnt vmcnt(1)
	v_mov_b32_e32 v6, 0
	v_mov_b32_e32 v7, 0
.LBB28_13:                              ;   in Loop: Header=BB28_7 Depth=2
	s_or_b32 exec_lo, exec_lo, s2
                                        ; implicit-def: $vgpr2
.LBB28_14:                              ;   in Loop: Header=BB28_7 Depth=2
	s_and_not1_saveexec_b32 s3, s3
	s_cbranch_execz .LBB28_16
; %bb.15:                               ;   in Loop: Header=BB28_7 Depth=2
	v_ashrrev_i32_e32 v3, 31, v2
	s_delay_alu instid0(VALU_DEP_1) | instskip(NEXT) | instid1(VALU_DEP_1)
	v_lshlrev_b64 v[2:3], 4, v[2:3]
	v_add_co_u32 v2, s2, v21, v2
	s_delay_alu instid0(VALU_DEP_1)
	v_add_co_ci_u32_e64 v3, s2, v22, v3, s2
	global_load_b128 v[4:7], v[2:3], off
	s_waitcnt vmcnt(0)
	v_xor_b32_e32 v7, 0x80000000, v7
.LBB28_16:                              ;   in Loop: Header=BB28_7 Depth=2
	s_or_b32 exec_lo, exec_lo, s3
.LBB28_17:                              ;   in Loop: Header=BB28_7 Depth=2
	s_delay_alu instid0(SALU_CYCLE_1)
	s_or_b32 exec_lo, exec_lo, s9
	v_add_nc_u32_e32 v13, s8, v15
	v_dual_mov_b32 v3, v1 :: v_dual_mov_b32 v2, v0
	s_waitcnt vmcnt(0)
	ds_store_b128 v23, v[4:7]
	v_cmp_gt_i32_e64 s2, s41, v13
	s_delay_alu instid0(VALU_DEP_1) | instskip(NEXT) | instid1(SALU_CYCLE_1)
	s_and_b32 s2, s2, vcc_lo
	s_and_saveexec_b32 s3, s2
	s_cbranch_execz .LBB28_19
; %bb.18:                               ;   in Loop: Header=BB28_7 Depth=2
	v_ashrrev_i32_e32 v14, 31, v13
	s_delay_alu instid0(VALU_DEP_1) | instskip(NEXT) | instid1(VALU_DEP_1)
	v_lshlrev_b64 v[0:1], 4, v[13:14]
	v_add_co_u32 v0, s2, v27, v0
	s_delay_alu instid0(VALU_DEP_1)
	v_add_co_ci_u32_e64 v1, s2, v28, v1, s2
	global_load_b128 v[0:3], v[0:1], off
.LBB28_19:                              ;   in Loop: Header=BB28_7 Depth=2
	s_or_b32 exec_lo, exec_lo, s3
	s_waitcnt vmcnt(0)
	ds_store_b128 v24, v[0:3]
	s_waitcnt lgkmcnt(0)
	s_barrier
	buffer_gl0_inv
	s_and_saveexec_b32 s2, s7
	s_cbranch_execz .LBB28_6
; %bb.20:                               ;   in Loop: Header=BB28_7 Depth=2
	v_mov_b32_e32 v0, 0
	v_dual_mov_b32 v1, 0 :: v_dual_mov_b32 v4, v20
	s_mov_b32 s3, 0
	s_delay_alu instid0(VALU_DEP_1)
	v_dual_mov_b32 v3, v1 :: v_dual_mov_b32 v2, v0
.LBB28_21:                              ;   Parent Loop BB28_4 Depth=1
                                        ;     Parent Loop BB28_7 Depth=2
                                        ; =>    This Inner Loop Header: Depth=3
	v_add_nc_u32_e32 v7, s3, v19
	s_addk_i32 s3, 0x80
	ds_load_b128 v[29:32], v4
	ds_load_b128 v[33:36], v7
	ds_load_b128 v[37:40], v4 offset:512
	ds_load_b128 v[41:44], v7 offset:16
	s_cmpk_eq_i32 s3, 0x200
	s_waitcnt lgkmcnt(2)
	v_mul_f64 v[5:6], v[31:32], v[35:36]
	v_mul_f64 v[13:14], v[29:30], v[35:36]
	s_waitcnt lgkmcnt(0)
	v_mul_f64 v[51:52], v[39:40], v[43:44]
	v_mul_f64 v[53:54], v[37:38], v[43:44]
	s_delay_alu instid0(VALU_DEP_4) | instskip(NEXT) | instid1(VALU_DEP_4)
	v_fma_f64 v[5:6], v[29:30], v[33:34], -v[5:6]
	v_fma_f64 v[13:14], v[31:32], v[33:34], v[13:14]
	ds_load_b128 v[29:32], v4 offset:1024
	ds_load_b128 v[33:36], v7 offset:32
	;; [unrolled: 1-line block ×4, first 2 shown]
	v_fma_f64 v[37:38], v[37:38], v[41:42], -v[51:52]
	v_fma_f64 v[39:40], v[39:40], v[41:42], v[53:54]
	s_waitcnt lgkmcnt(2)
	v_mul_f64 v[55:56], v[31:32], v[35:36]
	v_mul_f64 v[35:36], v[29:30], v[35:36]
	v_add_f64 v[0:1], v[0:1], v[5:6]
	v_add_f64 v[2:3], v[2:3], v[13:14]
	s_waitcnt lgkmcnt(0)
	v_mul_f64 v[5:6], v[45:46], v[49:50]
	v_mul_f64 v[13:14], v[43:44], v[49:50]
	v_fma_f64 v[41:42], v[29:30], v[33:34], -v[55:56]
	v_fma_f64 v[49:50], v[31:32], v[33:34], v[35:36]
	v_add_f64 v[51:52], v[0:1], v[37:38]
	v_add_f64 v[53:54], v[2:3], v[39:40]
	ds_load_b128 v[0:3], v4 offset:2048
	ds_load_b128 v[29:32], v7 offset:64
	;; [unrolled: 1-line block ×4, first 2 shown]
	v_fma_f64 v[5:6], v[43:44], v[47:48], -v[5:6]
	v_fma_f64 v[13:14], v[45:46], v[47:48], v[13:14]
	s_waitcnt lgkmcnt(2)
	v_mul_f64 v[55:56], v[2:3], v[31:32]
	v_mul_f64 v[31:32], v[0:1], v[31:32]
	s_waitcnt lgkmcnt(0)
	v_mul_f64 v[47:48], v[35:36], v[39:40]
	v_add_f64 v[41:42], v[51:52], v[41:42]
	v_add_f64 v[43:44], v[53:54], v[49:50]
	v_mul_f64 v[49:50], v[33:34], v[39:40]
	v_fma_f64 v[51:52], v[0:1], v[29:30], -v[55:56]
	v_fma_f64 v[53:54], v[2:3], v[29:30], v[31:32]
	v_fma_f64 v[33:34], v[33:34], v[37:38], -v[47:48]
	v_add_f64 v[5:6], v[41:42], v[5:6]
	v_add_f64 v[13:14], v[43:44], v[13:14]
	ds_load_b128 v[0:3], v4 offset:3072
	ds_load_b128 v[29:32], v7 offset:96
	;; [unrolled: 1-line block ×4, first 2 shown]
	v_fma_f64 v[35:36], v[35:36], v[37:38], v[49:50]
	v_add_nc_u32_e32 v4, 0x1000, v4
	s_waitcnt lgkmcnt(2)
	v_mul_f64 v[55:56], v[2:3], v[31:32]
	v_mul_f64 v[31:32], v[0:1], v[31:32]
	s_waitcnt lgkmcnt(0)
	v_mul_f64 v[37:38], v[41:42], v[45:46]
	v_mul_f64 v[45:46], v[39:40], v[45:46]
	v_add_f64 v[5:6], v[5:6], v[51:52]
	v_add_f64 v[13:14], v[13:14], v[53:54]
	v_fma_f64 v[0:1], v[0:1], v[29:30], -v[55:56]
	v_fma_f64 v[2:3], v[2:3], v[29:30], v[31:32]
	v_fma_f64 v[29:30], v[39:40], v[43:44], -v[37:38]
	v_fma_f64 v[31:32], v[41:42], v[43:44], v[45:46]
	v_add_f64 v[5:6], v[5:6], v[33:34]
	v_add_f64 v[13:14], v[13:14], v[35:36]
	s_delay_alu instid0(VALU_DEP_2) | instskip(NEXT) | instid1(VALU_DEP_2)
	v_add_f64 v[0:1], v[5:6], v[0:1]
	v_add_f64 v[2:3], v[13:14], v[2:3]
	s_delay_alu instid0(VALU_DEP_2) | instskip(NEXT) | instid1(VALU_DEP_2)
	v_add_f64 v[0:1], v[0:1], v[29:30]
	v_add_f64 v[2:3], v[2:3], v[31:32]
	s_cbranch_scc0 .LBB28_21
; %bb.22:                               ;   in Loop: Header=BB28_7 Depth=2
	global_load_b128 v[4:7], v[11:12], off
	v_mul_f64 v[13:14], s[38:39], v[2:3]
	v_mul_f64 v[29:30], s[38:39], v[0:1]
	s_delay_alu instid0(VALU_DEP_2) | instskip(NEXT) | instid1(VALU_DEP_2)
	v_fma_f64 v[0:1], s[36:37], v[0:1], -v[13:14]
	v_fma_f64 v[2:3], s[36:37], v[2:3], v[29:30]
	s_waitcnt vmcnt(0)
	s_delay_alu instid0(VALU_DEP_2) | instskip(NEXT) | instid1(VALU_DEP_2)
	v_add_f64 v[0:1], v[0:1], v[4:5]
	v_add_f64 v[2:3], v[2:3], v[6:7]
	global_store_b128 v[11:12], v[0:3], off
	s_branch .LBB28_6
.LBB28_23:
	s_endpgm
	.section	.rodata,"a",@progbits
	.p2align	6, 0x0
	.amdhsa_kernel _ZL24rocblas_symm_hemm_kernelILb1ELb0ELi32EPK19rocblas_complex_numIdES3_PS1_EvbiiT2_T3_lllS6_lllT4_llli
		.amdhsa_group_segment_fixed_size 32768
		.amdhsa_private_segment_fixed_size 0
		.amdhsa_kernarg_size 384
		.amdhsa_user_sgpr_count 13
		.amdhsa_user_sgpr_dispatch_ptr 0
		.amdhsa_user_sgpr_queue_ptr 0
		.amdhsa_user_sgpr_kernarg_segment_ptr 1
		.amdhsa_user_sgpr_dispatch_id 0
		.amdhsa_user_sgpr_private_segment_size 0
		.amdhsa_wavefront_size32 1
		.amdhsa_uses_dynamic_stack 0
		.amdhsa_enable_private_segment 0
		.amdhsa_system_sgpr_workgroup_id_x 1
		.amdhsa_system_sgpr_workgroup_id_y 1
		.amdhsa_system_sgpr_workgroup_id_z 1
		.amdhsa_system_sgpr_workgroup_info 0
		.amdhsa_system_vgpr_workitem_id 1
		.amdhsa_next_free_vgpr 57
		.amdhsa_next_free_sgpr 44
		.amdhsa_reserve_vcc 1
		.amdhsa_float_round_mode_32 0
		.amdhsa_float_round_mode_16_64 0
		.amdhsa_float_denorm_mode_32 3
		.amdhsa_float_denorm_mode_16_64 3
		.amdhsa_dx10_clamp 1
		.amdhsa_ieee_mode 1
		.amdhsa_fp16_overflow 0
		.amdhsa_workgroup_processor_mode 1
		.amdhsa_memory_ordered 1
		.amdhsa_forward_progress 0
		.amdhsa_shared_vgpr_count 0
		.amdhsa_exception_fp_ieee_invalid_op 0
		.amdhsa_exception_fp_denorm_src 0
		.amdhsa_exception_fp_ieee_div_zero 0
		.amdhsa_exception_fp_ieee_overflow 0
		.amdhsa_exception_fp_ieee_underflow 0
		.amdhsa_exception_fp_ieee_inexact 0
		.amdhsa_exception_int_div_zero 0
	.end_amdhsa_kernel
	.section	.text._ZL24rocblas_symm_hemm_kernelILb1ELb0ELi32EPK19rocblas_complex_numIdES3_PS1_EvbiiT2_T3_lllS6_lllT4_llli,"axG",@progbits,_ZL24rocblas_symm_hemm_kernelILb1ELb0ELi32EPK19rocblas_complex_numIdES3_PS1_EvbiiT2_T3_lllS6_lllT4_llli,comdat
.Lfunc_end28:
	.size	_ZL24rocblas_symm_hemm_kernelILb1ELb0ELi32EPK19rocblas_complex_numIdES3_PS1_EvbiiT2_T3_lllS6_lllT4_llli, .Lfunc_end28-_ZL24rocblas_symm_hemm_kernelILb1ELb0ELi32EPK19rocblas_complex_numIdES3_PS1_EvbiiT2_T3_lllS6_lllT4_llli
                                        ; -- End function
	.section	.AMDGPU.csdata,"",@progbits
; Kernel info:
; codeLenInByte = 1824
; NumSgprs: 46
; NumVgprs: 57
; ScratchSize: 0
; MemoryBound: 1
; FloatMode: 240
; IeeeMode: 1
; LDSByteSize: 32768 bytes/workgroup (compile time only)
; SGPRBlocks: 5
; VGPRBlocks: 7
; NumSGPRsForWavesPerEU: 46
; NumVGPRsForWavesPerEU: 57
; Occupancy: 16
; WaveLimiterHint : 0
; COMPUTE_PGM_RSRC2:SCRATCH_EN: 0
; COMPUTE_PGM_RSRC2:USER_SGPR: 13
; COMPUTE_PGM_RSRC2:TRAP_HANDLER: 0
; COMPUTE_PGM_RSRC2:TGID_X_EN: 1
; COMPUTE_PGM_RSRC2:TGID_Y_EN: 1
; COMPUTE_PGM_RSRC2:TGID_Z_EN: 1
; COMPUTE_PGM_RSRC2:TIDIG_COMP_CNT: 1
	.section	.text._ZL24rocblas_symm_hemm_kernelILb1ELb1ELi32EPK19rocblas_complex_numIdES3_PS1_EvbiiT2_T3_lllS6_lllT4_llli,"axG",@progbits,_ZL24rocblas_symm_hemm_kernelILb1ELb1ELi32EPK19rocblas_complex_numIdES3_PS1_EvbiiT2_T3_lllS6_lllT4_llli,comdat
	.globl	_ZL24rocblas_symm_hemm_kernelILb1ELb1ELi32EPK19rocblas_complex_numIdES3_PS1_EvbiiT2_T3_lllS6_lllT4_llli ; -- Begin function _ZL24rocblas_symm_hemm_kernelILb1ELb1ELi32EPK19rocblas_complex_numIdES3_PS1_EvbiiT2_T3_lllS6_lllT4_llli
	.p2align	8
	.type	_ZL24rocblas_symm_hemm_kernelILb1ELb1ELi32EPK19rocblas_complex_numIdES3_PS1_EvbiiT2_T3_lllS6_lllT4_llli,@function
_ZL24rocblas_symm_hemm_kernelILb1ELb1ELi32EPK19rocblas_complex_numIdES3_PS1_EvbiiT2_T3_lllS6_lllT4_llli: ; @_ZL24rocblas_symm_hemm_kernelILb1ELb1ELi32EPK19rocblas_complex_numIdES3_PS1_EvbiiT2_T3_lllS6_lllT4_llli
; %bb.0:
	s_load_b512 s[16:31], s[0:1], 0x10
	s_waitcnt lgkmcnt(0)
	s_load_b128 s[36:39], s[16:17], 0x0
	s_waitcnt lgkmcnt(0)
	v_cmp_eq_f64_e64 s2, s[36:37], 0
	v_cmp_eq_f64_e64 s3, s[38:39], 0
	s_delay_alu instid0(VALU_DEP_1) | instskip(NEXT) | instid1(SALU_CYCLE_1)
	s_and_b32 s2, s2, s3
	s_and_b32 vcc_lo, exec_lo, s2
	s_cbranch_vccnz .LBB29_23
; %bb.1:
	s_load_b128 s[40:43], s[0:1], 0x0
	s_waitcnt lgkmcnt(0)
	s_add_i32 s2, s42, -1
	s_delay_alu instid0(SALU_CYCLE_1) | instskip(NEXT) | instid1(SALU_CYCLE_1)
	s_ashr_i32 s3, s2, 31
	s_lshr_b32 s3, s3, 27
	s_delay_alu instid0(SALU_CYCLE_1) | instskip(NEXT) | instid1(SALU_CYCLE_1)
	s_add_i32 s2, s2, s3
	s_ashr_i32 s3, s2, 5
	s_delay_alu instid0(SALU_CYCLE_1)
	s_cmp_gt_i32 s14, s3
	s_cbranch_scc1 .LBB29_23
; %bb.2:
	s_clause 0x1
	s_load_b64 s[34:35], s[0:1], 0x70
	s_load_b256 s[4:11], s[0:1], 0x50
	s_mul_i32 s2, s15, s25
	s_mul_hi_u32 s12, s15, s24
	s_mul_i32 s16, s15, s24
	s_add_i32 s17, s12, s2
	s_load_b32 s12, s[0:1], 0x84
	s_lshl_b64 s[16:17], s[16:17], 4
	v_and_b32_e32 v15, 0x3ff, v0
	s_add_u32 s2, s18, s16
	s_addc_u32 s18, s19, s17
	s_lshl_b64 s[16:17], s[20:21], 4
	v_bfe_u32 v16, v0, 10, 10
	s_add_u32 s16, s2, s16
	s_addc_u32 s17, s18, s17
	s_bitcmp1_b32 s40, 0
	v_lshl_add_u32 v1, s13, 5, v15
	s_cselect_b32 s0, -1, 0
	v_lshlrev_b32_e32 v0, 4, v16
	v_lshlrev_b32_e32 v17, 9, v15
	s_waitcnt lgkmcnt(0)
	s_mul_i32 s1, s15, s35
	s_mul_hi_u32 s2, s15, s34
	s_mul_i32 s18, s15, s34
	s_add_i32 s19, s2, s1
	s_mul_i32 s1, s15, s5
	s_lshl_b64 s[18:19], s[18:19], 4
	s_mul_hi_u32 s2, s15, s4
	s_add_u32 s5, s6, s18
	s_addc_u32 s13, s7, s19
	s_lshl_b64 s[6:7], s[8:9], 4
	v_ashrrev_i32_e32 v2, 31, v1
	s_add_u32 s6, s5, s6
	s_mul_i32 s4, s15, s4
	s_addc_u32 s7, s13, s7
	s_add_i32 s5, s2, s1
	v_lshlrev_b64 v[2:3], 4, v[1:2]
	s_lshl_b64 s[4:5], s[4:5], 4
	v_or_b32_e32 v18, 0x4000, v0
	s_add_u32 s1, s26, s4
	s_addc_u32 s2, s27, s5
	s_lshl_b64 s[4:5], s[28:29], 4
	v_add_nc_u32_e32 v21, v17, v0
	s_add_u32 s4, s1, s4
	s_addc_u32 s2, s2, s5
	v_add_co_u32 v19, vcc_lo, s4, v2
	v_add_co_ci_u32_e32 v20, vcc_lo, s2, v3, vcc_lo
	v_add_co_u32 v23, vcc_lo, s6, v2
	v_cmp_gt_i32_e64 s1, s41, v1
	v_add_nc_u32_e32 v22, v18, v17
	v_add_co_ci_u32_e32 v24, vcc_lo, s7, v3, vcc_lo
	s_cmp_gt_i32 s42, 0
	s_cselect_b32 s4, -1, 0
	s_branch .LBB29_4
.LBB29_3:                               ;   in Loop: Header=BB29_4 Depth=1
	s_add_i32 s14, s14, s12
	s_delay_alu instid0(SALU_CYCLE_1)
	s_cmp_gt_i32 s14, s3
	s_cbranch_scc1 .LBB29_23
.LBB29_4:                               ; =>This Loop Header: Depth=1
                                        ;     Child Loop BB29_7 Depth 2
                                        ;       Child Loop BB29_21 Depth 3
	s_and_not1_b32 vcc_lo, exec_lo, s4
	s_cbranch_vccnz .LBB29_3
; %bb.5:                                ;   in Loop: Header=BB29_4 Depth=1
	v_lshl_add_u32 v8, s14, 5, v16
	s_mov_b32 s6, 0
	s_delay_alu instid0(VALU_DEP_1) | instskip(SKIP_3) | instid1(VALU_DEP_4)
	v_ashrrev_i32_e32 v9, 31, v8
	v_mul_lo_u32 v4, v8, s23
	v_mad_u64_u32 v[0:1], null, v8, s22, 0
	v_mul_lo_u32 v6, v8, s11
	v_mul_lo_u32 v5, v9, s22
	v_mad_u64_u32 v[2:3], null, v8, s10, 0
	v_mul_lo_u32 v7, v9, s10
	v_cmp_gt_i32_e32 vcc_lo, s42, v8
	s_delay_alu instid0(VALU_DEP_4) | instskip(SKIP_2) | instid1(VALU_DEP_4)
	v_add3_u32 v1, v1, v4, v5
	v_lshlrev_b64 v[4:5], 4, v[8:9]
	s_and_b32 s5, s1, vcc_lo
	v_add3_u32 v3, v3, v6, v7
	s_delay_alu instid0(VALU_DEP_3) | instskip(NEXT) | instid1(VALU_DEP_3)
	v_lshlrev_b64 v[0:1], 4, v[0:1]
	v_add_co_u32 v25, s2, s16, v4
	s_delay_alu instid0(VALU_DEP_3) | instskip(SKIP_1) | instid1(VALU_DEP_4)
	v_lshlrev_b64 v[2:3], 4, v[2:3]
	v_add_co_ci_u32_e64 v26, s2, s17, v5, s2
	v_add_co_u32 v27, s2, s16, v0
	s_delay_alu instid0(VALU_DEP_1) | instskip(NEXT) | instid1(VALU_DEP_4)
	v_add_co_ci_u32_e64 v28, s2, s17, v1, s2
	v_add_co_u32 v9, s2, v23, v2
	s_delay_alu instid0(VALU_DEP_1) | instskip(NEXT) | instid1(VALU_DEP_4)
	v_add_co_ci_u32_e64 v10, s2, v24, v3, s2
	v_add_co_u32 v11, s2, v27, v4
	s_delay_alu instid0(VALU_DEP_1)
	v_add_co_ci_u32_e64 v12, s2, v28, v5, s2
	s_branch .LBB29_7
.LBB29_6:                               ;   in Loop: Header=BB29_7 Depth=2
	s_or_b32 exec_lo, exec_lo, s2
	s_add_i32 s6, s6, 32
	s_waitcnt_vscnt null, 0x0
	s_cmp_ge_i32 s6, s42
	s_barrier
	buffer_gl0_inv
	s_cbranch_scc1 .LBB29_3
.LBB29_7:                               ;   Parent Loop BB29_4 Depth=1
                                        ; =>  This Loop Header: Depth=2
                                        ;       Child Loop BB29_21 Depth 3
	v_add_nc_u32_e32 v2, s6, v16
	v_mov_b32_e32 v0, 0
	v_mov_b32_e32 v1, 0
	s_delay_alu instid0(VALU_DEP_3) | instskip(NEXT) | instid1(VALU_DEP_2)
	v_cmp_gt_i32_e32 vcc_lo, s42, v2
	v_dual_mov_b32 v5, v1 :: v_dual_mov_b32 v4, v0
	v_dual_mov_b32 v7, v1 :: v_dual_mov_b32 v6, v0
	s_and_b32 s7, s1, vcc_lo
	s_delay_alu instid0(SALU_CYCLE_1)
	s_and_saveexec_b32 s2, s7
	s_cbranch_execz .LBB29_9
; %bb.8:                                ;   in Loop: Header=BB29_7 Depth=2
	v_ashrrev_i32_e32 v5, 31, v2
	v_mul_lo_u32 v6, v2, s31
	v_mad_u64_u32 v[3:4], null, v2, s30, 0
	s_delay_alu instid0(VALU_DEP_3) | instskip(NEXT) | instid1(VALU_DEP_1)
	v_mul_lo_u32 v2, v5, s30
	v_add3_u32 v4, v4, v6, v2
	s_delay_alu instid0(VALU_DEP_1) | instskip(NEXT) | instid1(VALU_DEP_1)
	v_lshlrev_b64 v[2:3], 4, v[3:4]
	v_add_co_u32 v2, vcc_lo, v19, v2
	s_delay_alu instid0(VALU_DEP_2)
	v_add_co_ci_u32_e32 v3, vcc_lo, v20, v3, vcc_lo
	global_load_b128 v[4:7], v[2:3], off
.LBB29_9:                               ;   in Loop: Header=BB29_7 Depth=2
	s_or_b32 exec_lo, exec_lo, s2
	v_add_nc_u32_e32 v13, s6, v15
	s_mov_b32 s7, exec_lo
	s_waitcnt vmcnt(0)
	ds_store_b128 v21, v[4:7]
	v_cndmask_b32_e64 v2, v8, v13, s0
	v_cndmask_b32_e64 v3, v13, v8, s0
	s_delay_alu instid0(VALU_DEP_1) | instskip(SKIP_3) | instid1(VALU_DEP_3)
	v_cmp_gt_i32_e32 vcc_lo, v2, v3
	v_dual_cndmask_b32 v14, v13, v8 :: v_dual_cndmask_b32 v29, v8, v13
	v_cmp_le_i32_e32 vcc_lo, v2, v3
	v_dual_mov_b32 v3, v1 :: v_dual_mov_b32 v2, v0
	v_max_i32_e32 v14, v14, v29
	s_delay_alu instid0(VALU_DEP_1)
	v_cmpx_gt_i32_e64 s42, v14
	s_cbranch_execz .LBB29_19
; %bb.10:                               ;   in Loop: Header=BB29_7 Depth=2
                                        ; implicit-def: $vgpr2_vgpr3
	s_and_saveexec_b32 s2, vcc_lo
	s_delay_alu instid0(SALU_CYCLE_1)
	s_xor_b32 s2, exec_lo, s2
	s_cbranch_execz .LBB29_16
; %bb.11:                               ;   in Loop: Header=BB29_7 Depth=2
	s_mov_b32 s8, exec_lo
                                        ; implicit-def: $vgpr2_vgpr3
	v_cmpx_ne_u32_e64 v13, v8
	s_xor_b32 s8, exec_lo, s8
	s_cbranch_execz .LBB29_13
; %bb.12:                               ;   in Loop: Header=BB29_7 Depth=2
	v_ashrrev_i32_e32 v14, 31, v13
	s_delay_alu instid0(VALU_DEP_1) | instskip(NEXT) | instid1(VALU_DEP_1)
	v_lshlrev_b64 v[0:1], 4, v[13:14]
	v_add_co_u32 v0, vcc_lo, v27, v0
	s_delay_alu instid0(VALU_DEP_2)
	v_add_co_ci_u32_e32 v1, vcc_lo, v28, v1, vcc_lo
	global_load_b128 v[0:3], v[0:1], off
.LBB29_13:                              ;   in Loop: Header=BB29_7 Depth=2
	s_and_not1_saveexec_b32 s8, s8
	s_cbranch_execz .LBB29_15
; %bb.14:                               ;   in Loop: Header=BB29_7 Depth=2
	global_load_b64 v[0:1], v[11:12], off
	s_waitcnt vmcnt(1)
	v_mov_b32_e32 v2, 0
	v_mov_b32_e32 v3, 0
.LBB29_15:                              ;   in Loop: Header=BB29_7 Depth=2
	s_or_b32 exec_lo, exec_lo, s8
                                        ; implicit-def: $vgpr13
.LBB29_16:                              ;   in Loop: Header=BB29_7 Depth=2
	s_and_not1_saveexec_b32 s2, s2
	s_cbranch_execz .LBB29_18
; %bb.17:                               ;   in Loop: Header=BB29_7 Depth=2
	s_waitcnt vmcnt(0)
	v_ashrrev_i32_e32 v2, 31, v13
	v_mul_lo_u32 v3, v13, s23
	v_mad_u64_u32 v[0:1], null, v13, s22, 0
	s_delay_alu instid0(VALU_DEP_3) | instskip(NEXT) | instid1(VALU_DEP_1)
	v_mul_lo_u32 v2, v2, s22
	v_add3_u32 v1, v1, v3, v2
	s_delay_alu instid0(VALU_DEP_1) | instskip(NEXT) | instid1(VALU_DEP_1)
	v_lshlrev_b64 v[0:1], 4, v[0:1]
	v_add_co_u32 v0, vcc_lo, v25, v0
	s_delay_alu instid0(VALU_DEP_2)
	v_add_co_ci_u32_e32 v1, vcc_lo, v26, v1, vcc_lo
	global_load_b128 v[0:3], v[0:1], off
	s_waitcnt vmcnt(0)
	v_xor_b32_e32 v3, 0x80000000, v3
.LBB29_18:                              ;   in Loop: Header=BB29_7 Depth=2
	s_or_b32 exec_lo, exec_lo, s2
.LBB29_19:                              ;   in Loop: Header=BB29_7 Depth=2
	s_delay_alu instid0(SALU_CYCLE_1)
	s_or_b32 exec_lo, exec_lo, s7
	s_waitcnt vmcnt(0)
	ds_store_b128 v22, v[0:3]
	s_waitcnt lgkmcnt(0)
	s_barrier
	buffer_gl0_inv
	s_and_saveexec_b32 s2, s5
	s_cbranch_execz .LBB29_6
; %bb.20:                               ;   in Loop: Header=BB29_7 Depth=2
	v_mov_b32_e32 v0, 0
	v_dual_mov_b32 v1, 0 :: v_dual_mov_b32 v4, v18
	s_mov_b32 s7, 0
	s_delay_alu instid0(VALU_DEP_1)
	v_dual_mov_b32 v3, v1 :: v_dual_mov_b32 v2, v0
.LBB29_21:                              ;   Parent Loop BB29_4 Depth=1
                                        ;     Parent Loop BB29_7 Depth=2
                                        ; =>    This Inner Loop Header: Depth=3
	v_add_nc_u32_e32 v7, s7, v17
	s_addk_i32 s7, 0x80
	ds_load_b128 v[29:32], v4
	ds_load_b128 v[33:36], v7
	ds_load_b128 v[37:40], v4 offset:512
	ds_load_b128 v[41:44], v7 offset:16
	s_cmpk_eq_i32 s7, 0x200
	s_waitcnt lgkmcnt(2)
	v_mul_f64 v[5:6], v[31:32], v[35:36]
	v_mul_f64 v[13:14], v[29:30], v[35:36]
	s_waitcnt lgkmcnt(0)
	v_mul_f64 v[51:52], v[39:40], v[43:44]
	v_mul_f64 v[53:54], v[37:38], v[43:44]
	s_delay_alu instid0(VALU_DEP_4) | instskip(NEXT) | instid1(VALU_DEP_4)
	v_fma_f64 v[5:6], v[29:30], v[33:34], -v[5:6]
	v_fma_f64 v[13:14], v[31:32], v[33:34], v[13:14]
	ds_load_b128 v[29:32], v4 offset:1024
	ds_load_b128 v[33:36], v7 offset:32
	;; [unrolled: 1-line block ×4, first 2 shown]
	v_fma_f64 v[37:38], v[37:38], v[41:42], -v[51:52]
	v_fma_f64 v[39:40], v[39:40], v[41:42], v[53:54]
	s_waitcnt lgkmcnt(2)
	v_mul_f64 v[55:56], v[31:32], v[35:36]
	v_mul_f64 v[35:36], v[29:30], v[35:36]
	v_add_f64 v[0:1], v[0:1], v[5:6]
	v_add_f64 v[2:3], v[2:3], v[13:14]
	s_waitcnt lgkmcnt(0)
	v_mul_f64 v[5:6], v[45:46], v[49:50]
	v_mul_f64 v[13:14], v[43:44], v[49:50]
	v_fma_f64 v[41:42], v[29:30], v[33:34], -v[55:56]
	v_fma_f64 v[49:50], v[31:32], v[33:34], v[35:36]
	v_add_f64 v[51:52], v[0:1], v[37:38]
	v_add_f64 v[53:54], v[2:3], v[39:40]
	ds_load_b128 v[0:3], v4 offset:2048
	ds_load_b128 v[29:32], v7 offset:64
	;; [unrolled: 1-line block ×4, first 2 shown]
	v_fma_f64 v[5:6], v[43:44], v[47:48], -v[5:6]
	v_fma_f64 v[13:14], v[45:46], v[47:48], v[13:14]
	s_waitcnt lgkmcnt(2)
	v_mul_f64 v[55:56], v[2:3], v[31:32]
	v_mul_f64 v[31:32], v[0:1], v[31:32]
	s_waitcnt lgkmcnt(0)
	v_mul_f64 v[47:48], v[35:36], v[39:40]
	v_add_f64 v[41:42], v[51:52], v[41:42]
	v_add_f64 v[43:44], v[53:54], v[49:50]
	v_mul_f64 v[49:50], v[33:34], v[39:40]
	v_fma_f64 v[51:52], v[0:1], v[29:30], -v[55:56]
	v_fma_f64 v[53:54], v[2:3], v[29:30], v[31:32]
	v_fma_f64 v[33:34], v[33:34], v[37:38], -v[47:48]
	v_add_f64 v[5:6], v[41:42], v[5:6]
	v_add_f64 v[13:14], v[43:44], v[13:14]
	ds_load_b128 v[0:3], v4 offset:3072
	ds_load_b128 v[29:32], v7 offset:96
	;; [unrolled: 1-line block ×4, first 2 shown]
	v_fma_f64 v[35:36], v[35:36], v[37:38], v[49:50]
	v_add_nc_u32_e32 v4, 0x1000, v4
	s_waitcnt lgkmcnt(2)
	v_mul_f64 v[55:56], v[2:3], v[31:32]
	v_mul_f64 v[31:32], v[0:1], v[31:32]
	s_waitcnt lgkmcnt(0)
	v_mul_f64 v[37:38], v[41:42], v[45:46]
	v_mul_f64 v[45:46], v[39:40], v[45:46]
	v_add_f64 v[5:6], v[5:6], v[51:52]
	v_add_f64 v[13:14], v[13:14], v[53:54]
	v_fma_f64 v[0:1], v[0:1], v[29:30], -v[55:56]
	v_fma_f64 v[2:3], v[2:3], v[29:30], v[31:32]
	v_fma_f64 v[29:30], v[39:40], v[43:44], -v[37:38]
	v_fma_f64 v[31:32], v[41:42], v[43:44], v[45:46]
	v_add_f64 v[5:6], v[5:6], v[33:34]
	v_add_f64 v[13:14], v[13:14], v[35:36]
	s_delay_alu instid0(VALU_DEP_2) | instskip(NEXT) | instid1(VALU_DEP_2)
	v_add_f64 v[0:1], v[5:6], v[0:1]
	v_add_f64 v[2:3], v[13:14], v[2:3]
	s_delay_alu instid0(VALU_DEP_2) | instskip(NEXT) | instid1(VALU_DEP_2)
	v_add_f64 v[0:1], v[0:1], v[29:30]
	v_add_f64 v[2:3], v[2:3], v[31:32]
	s_cbranch_scc0 .LBB29_21
; %bb.22:                               ;   in Loop: Header=BB29_7 Depth=2
	global_load_b128 v[4:7], v[9:10], off
	v_mul_f64 v[13:14], s[38:39], v[2:3]
	v_mul_f64 v[29:30], s[38:39], v[0:1]
	s_delay_alu instid0(VALU_DEP_2) | instskip(NEXT) | instid1(VALU_DEP_2)
	v_fma_f64 v[0:1], s[36:37], v[0:1], -v[13:14]
	v_fma_f64 v[2:3], s[36:37], v[2:3], v[29:30]
	s_waitcnt vmcnt(0)
	s_delay_alu instid0(VALU_DEP_2) | instskip(NEXT) | instid1(VALU_DEP_2)
	v_add_f64 v[0:1], v[0:1], v[4:5]
	v_add_f64 v[2:3], v[2:3], v[6:7]
	global_store_b128 v[9:10], v[0:3], off
	s_branch .LBB29_6
.LBB29_23:
	s_endpgm
	.section	.rodata,"a",@progbits
	.p2align	6, 0x0
	.amdhsa_kernel _ZL24rocblas_symm_hemm_kernelILb1ELb1ELi32EPK19rocblas_complex_numIdES3_PS1_EvbiiT2_T3_lllS6_lllT4_llli
		.amdhsa_group_segment_fixed_size 32768
		.amdhsa_private_segment_fixed_size 0
		.amdhsa_kernarg_size 384
		.amdhsa_user_sgpr_count 13
		.amdhsa_user_sgpr_dispatch_ptr 0
		.amdhsa_user_sgpr_queue_ptr 0
		.amdhsa_user_sgpr_kernarg_segment_ptr 1
		.amdhsa_user_sgpr_dispatch_id 0
		.amdhsa_user_sgpr_private_segment_size 0
		.amdhsa_wavefront_size32 1
		.amdhsa_uses_dynamic_stack 0
		.amdhsa_enable_private_segment 0
		.amdhsa_system_sgpr_workgroup_id_x 1
		.amdhsa_system_sgpr_workgroup_id_y 1
		.amdhsa_system_sgpr_workgroup_id_z 1
		.amdhsa_system_sgpr_workgroup_info 0
		.amdhsa_system_vgpr_workitem_id 1
		.amdhsa_next_free_vgpr 57
		.amdhsa_next_free_sgpr 44
		.amdhsa_reserve_vcc 1
		.amdhsa_float_round_mode_32 0
		.amdhsa_float_round_mode_16_64 0
		.amdhsa_float_denorm_mode_32 3
		.amdhsa_float_denorm_mode_16_64 3
		.amdhsa_dx10_clamp 1
		.amdhsa_ieee_mode 1
		.amdhsa_fp16_overflow 0
		.amdhsa_workgroup_processor_mode 1
		.amdhsa_memory_ordered 1
		.amdhsa_forward_progress 0
		.amdhsa_shared_vgpr_count 0
		.amdhsa_exception_fp_ieee_invalid_op 0
		.amdhsa_exception_fp_denorm_src 0
		.amdhsa_exception_fp_ieee_div_zero 0
		.amdhsa_exception_fp_ieee_overflow 0
		.amdhsa_exception_fp_ieee_underflow 0
		.amdhsa_exception_fp_ieee_inexact 0
		.amdhsa_exception_int_div_zero 0
	.end_amdhsa_kernel
	.section	.text._ZL24rocblas_symm_hemm_kernelILb1ELb1ELi32EPK19rocblas_complex_numIdES3_PS1_EvbiiT2_T3_lllS6_lllT4_llli,"axG",@progbits,_ZL24rocblas_symm_hemm_kernelILb1ELb1ELi32EPK19rocblas_complex_numIdES3_PS1_EvbiiT2_T3_lllS6_lllT4_llli,comdat
.Lfunc_end29:
	.size	_ZL24rocblas_symm_hemm_kernelILb1ELb1ELi32EPK19rocblas_complex_numIdES3_PS1_EvbiiT2_T3_lllS6_lllT4_llli, .Lfunc_end29-_ZL24rocblas_symm_hemm_kernelILb1ELb1ELi32EPK19rocblas_complex_numIdES3_PS1_EvbiiT2_T3_lllS6_lllT4_llli
                                        ; -- End function
	.section	.AMDGPU.csdata,"",@progbits
; Kernel info:
; codeLenInByte = 1800
; NumSgprs: 46
; NumVgprs: 57
; ScratchSize: 0
; MemoryBound: 1
; FloatMode: 240
; IeeeMode: 1
; LDSByteSize: 32768 bytes/workgroup (compile time only)
; SGPRBlocks: 5
; VGPRBlocks: 7
; NumSGPRsForWavesPerEU: 46
; NumVGPRsForWavesPerEU: 57
; Occupancy: 16
; WaveLimiterHint : 0
; COMPUTE_PGM_RSRC2:SCRATCH_EN: 0
; COMPUTE_PGM_RSRC2:USER_SGPR: 13
; COMPUTE_PGM_RSRC2:TRAP_HANDLER: 0
; COMPUTE_PGM_RSRC2:TGID_X_EN: 1
; COMPUTE_PGM_RSRC2:TGID_Y_EN: 1
; COMPUTE_PGM_RSRC2:TGID_Z_EN: 1
; COMPUTE_PGM_RSRC2:TIDIG_COMP_CNT: 1
	.section	.text._ZL24rocblas_symm_hemm_kernelILb1ELb0ELi32E19rocblas_complex_numIdEPKS1_PS1_EvbiiT2_T3_lllS6_lllT4_llli,"axG",@progbits,_ZL24rocblas_symm_hemm_kernelILb1ELb0ELi32E19rocblas_complex_numIdEPKS1_PS1_EvbiiT2_T3_lllS6_lllT4_llli,comdat
	.globl	_ZL24rocblas_symm_hemm_kernelILb1ELb0ELi32E19rocblas_complex_numIdEPKS1_PS1_EvbiiT2_T3_lllS6_lllT4_llli ; -- Begin function _ZL24rocblas_symm_hemm_kernelILb1ELb0ELi32E19rocblas_complex_numIdEPKS1_PS1_EvbiiT2_T3_lllS6_lllT4_llli
	.p2align	8
	.type	_ZL24rocblas_symm_hemm_kernelILb1ELb0ELi32E19rocblas_complex_numIdEPKS1_PS1_EvbiiT2_T3_lllS6_lllT4_llli,@function
_ZL24rocblas_symm_hemm_kernelILb1ELb0ELi32E19rocblas_complex_numIdEPKS1_PS1_EvbiiT2_T3_lllS6_lllT4_llli: ; @_ZL24rocblas_symm_hemm_kernelILb1ELb0ELi32E19rocblas_complex_numIdEPKS1_PS1_EvbiiT2_T3_lllS6_lllT4_llli
; %bb.0:
	s_load_b512 s[16:31], s[0:1], 0x10
	s_waitcnt lgkmcnt(0)
	v_cmp_eq_f64_e64 s2, s[16:17], 0
	v_cmp_eq_f64_e64 s3, s[18:19], 0
	s_delay_alu instid0(VALU_DEP_1) | instskip(NEXT) | instid1(SALU_CYCLE_1)
	s_and_b32 s2, s2, s3
	s_and_b32 vcc_lo, exec_lo, s2
	s_cbranch_vccnz .LBB30_23
; %bb.1:
	s_load_b128 s[36:39], s[0:1], 0x0
	s_waitcnt lgkmcnt(0)
	s_add_i32 s2, s38, -1
	s_delay_alu instid0(SALU_CYCLE_1) | instskip(NEXT) | instid1(SALU_CYCLE_1)
	s_ashr_i32 s3, s2, 31
	s_lshr_b32 s3, s3, 27
	s_delay_alu instid0(SALU_CYCLE_1) | instskip(NEXT) | instid1(SALU_CYCLE_1)
	s_add_i32 s2, s2, s3
	s_ashr_i32 s12, s2, 5
	s_delay_alu instid0(SALU_CYCLE_1)
	s_cmp_gt_i32 s14, s12
	s_cbranch_scc1 .LBB30_23
; %bb.2:
	s_clause 0x1
	s_load_b256 s[4:11], s[0:1], 0x50
	s_load_b128 s[40:43], s[0:1], 0x70
	v_and_b32_e32 v15, 0x3ff, v0
	s_mul_i32 s3, s15, s27
	s_mul_hi_u32 s33, s15, s26
	s_mul_i32 s2, s15, s26
	v_bfe_u32 v16, v0, 10, 10
	v_lshl_add_u32 v8, s13, 5, v15
	s_load_b32 s13, s[0:1], 0x8c
	v_lshlrev_b32_e32 v19, 9, v15
	s_delay_alu instid0(VALU_DEP_3) | instskip(NEXT) | instid1(VALU_DEP_3)
	v_lshlrev_b32_e32 v4, 4, v16
	v_ashrrev_i32_e32 v9, 31, v8
	v_mul_lo_u32 v2, v8, s25
	v_mad_u64_u32 v[0:1], null, v8, s24, 0
	s_delay_alu instid0(VALU_DEP_4) | instskip(NEXT) | instid1(VALU_DEP_4)
	v_or_b32_e32 v20, 0x4000, v4
	v_mul_lo_u32 v3, v9, s24
	v_add_nc_u32_e32 v23, v19, v4
	s_waitcnt lgkmcnt(0)
	s_mul_i32 s1, s15, s7
	s_mul_hi_u32 s7, s15, s6
	s_mul_i32 s0, s15, s6
	s_add_i32 s1, s7, s1
	s_mul_i32 s27, s15, s43
	s_lshl_b64 s[0:1], s[0:1], 4
	s_mul_i32 s26, s15, s42
	s_add_u32 s6, s28, s0
	s_addc_u32 s7, s29, s1
	s_lshl_b64 s[0:1], s[30:31], 4
	s_mul_hi_u32 s28, s15, s42
	s_add_u32 s6, s6, s0
	s_addc_u32 s7, s7, s1
	s_bitcmp1_b32 s36, 0
	v_add3_u32 v1, v1, v2, v3
	s_cselect_b32 s0, -1, 0
	s_add_i32 s27, s28, s27
	v_lshlrev_b64 v[2:3], 4, v[8:9]
	s_lshl_b64 s[26:27], s[26:27], 4
	v_lshlrev_b64 v[0:1], 4, v[0:1]
	s_add_u32 s1, s8, s26
	s_addc_u32 s15, s9, s27
	s_lshl_b64 s[8:9], s[10:11], 4
	v_add_nc_u32_e32 v24, v20, v19
	s_add_u32 s8, s1, s8
	s_addc_u32 s9, s15, s9
	s_add_i32 s3, s33, s3
	s_delay_alu instid0(SALU_CYCLE_1) | instskip(NEXT) | instid1(SALU_CYCLE_1)
	s_lshl_b64 s[2:3], s[2:3], 4
	s_add_u32 s1, s20, s2
	s_addc_u32 s10, s21, s3
	s_lshl_b64 s[2:3], s[22:23], 4
	s_delay_alu instid0(SALU_CYCLE_1)
	s_add_u32 s1, s1, s2
	s_addc_u32 s2, s10, s3
	v_add_co_u32 v17, vcc_lo, s1, v2
	v_add_co_ci_u32_e32 v18, vcc_lo, s2, v3, vcc_lo
	v_add_co_u32 v21, vcc_lo, s1, v0
	v_add_co_ci_u32_e32 v22, vcc_lo, s2, v1, vcc_lo
	v_add_co_u32 v25, vcc_lo, s8, v2
	v_add_co_ci_u32_e32 v26, vcc_lo, s9, v3, vcc_lo
	v_add_co_u32 v9, vcc_lo, v17, v0
	v_cmp_gt_i32_e64 s1, s37, v8
	v_add_co_ci_u32_e32 v10, vcc_lo, v18, v1, vcc_lo
	s_cmp_gt_i32 s37, 0
	s_cselect_b32 s8, -1, 0
	s_branch .LBB30_4
.LBB30_3:                               ;   in Loop: Header=BB30_4 Depth=1
	s_add_i32 s14, s14, s13
	s_delay_alu instid0(SALU_CYCLE_1)
	s_cmp_gt_i32 s14, s12
	s_cbranch_scc1 .LBB30_23
.LBB30_4:                               ; =>This Loop Header: Depth=1
                                        ;     Child Loop BB30_7 Depth 2
                                        ;       Child Loop BB30_21 Depth 3
	s_and_not1_b32 vcc_lo, exec_lo, s8
	s_cbranch_vccnz .LBB30_3
; %bb.5:                                ;   in Loop: Header=BB30_4 Depth=1
	v_lshl_add_u32 v4, s14, 5, v16
	s_mov_b32 s10, 0
	s_delay_alu instid0(VALU_DEP_1) | instskip(SKIP_3) | instid1(VALU_DEP_4)
	v_ashrrev_i32_e32 v5, 31, v4
	v_mul_lo_u32 v6, v4, s5
	v_mad_u64_u32 v[0:1], null, v4, s4, 0
	v_mul_lo_u32 v11, v4, s41
	v_mul_lo_u32 v7, v5, s4
	v_mad_u64_u32 v[2:3], null, v4, s40, 0
	v_mul_lo_u32 v5, v5, s40
	v_cmp_gt_i32_e32 vcc_lo, s38, v4
	s_delay_alu instid0(VALU_DEP_4) | instskip(SKIP_1) | instid1(VALU_DEP_3)
	v_add3_u32 v1, v1, v6, v7
	s_and_b32 s9, s1, vcc_lo
	v_add3_u32 v3, v3, v11, v5
	s_delay_alu instid0(VALU_DEP_2) | instskip(NEXT) | instid1(VALU_DEP_2)
	v_lshlrev_b64 v[0:1], 4, v[0:1]
	v_lshlrev_b64 v[2:3], 4, v[2:3]
	s_delay_alu instid0(VALU_DEP_2) | instskip(NEXT) | instid1(VALU_DEP_1)
	v_add_co_u32 v27, s2, s6, v0
	v_add_co_ci_u32_e64 v28, s2, s7, v1, s2
	s_delay_alu instid0(VALU_DEP_3) | instskip(NEXT) | instid1(VALU_DEP_1)
	v_add_co_u32 v11, s2, v25, v2
	v_add_co_ci_u32_e64 v12, s2, v26, v3, s2
	s_branch .LBB30_7
.LBB30_6:                               ;   in Loop: Header=BB30_7 Depth=2
	s_or_b32 exec_lo, exec_lo, s2
	s_add_i32 s10, s10, 32
	s_waitcnt_vscnt null, 0x0
	s_cmp_ge_i32 s10, s37
	s_barrier
	buffer_gl0_inv
	s_cbranch_scc1 .LBB30_3
.LBB30_7:                               ;   Parent Loop BB30_4 Depth=1
                                        ; =>  This Loop Header: Depth=2
                                        ;       Child Loop BB30_21 Depth 3
	v_add_nc_u32_e32 v2, s10, v16
	v_mov_b32_e32 v0, 0
	v_mov_b32_e32 v1, 0
	s_delay_alu instid0(VALU_DEP_3) | instskip(SKIP_1) | instid1(VALU_DEP_1)
	v_cndmask_b32_e64 v3, v2, v8, s0
	v_cndmask_b32_e64 v6, v8, v2, s0
	v_cmp_gt_i32_e64 s2, v3, v6
	s_delay_alu instid0(VALU_DEP_1) | instskip(SKIP_2) | instid1(VALU_DEP_2)
	v_cndmask_b32_e64 v4, v8, v2, s2
	v_cndmask_b32_e64 v5, v2, v8, s2
	v_cmp_le_i32_e64 s2, v3, v6
	v_max_i32_e32 v7, v4, v5
	v_dual_mov_b32 v5, v1 :: v_dual_mov_b32 v4, v0
	s_delay_alu instid0(VALU_DEP_2) | instskip(SKIP_1) | instid1(VALU_DEP_2)
	v_cmp_gt_i32_e64 s3, s37, v7
	v_dual_mov_b32 v7, v1 :: v_dual_mov_b32 v6, v0
	s_and_saveexec_b32 s11, s3
	s_cbranch_execz .LBB30_17
; %bb.8:                                ;   in Loop: Header=BB30_7 Depth=2
                                        ; implicit-def: $vgpr6_vgpr7
	s_and_saveexec_b32 s3, s2
	s_delay_alu instid0(SALU_CYCLE_1)
	s_xor_b32 s3, exec_lo, s3
	s_cbranch_execz .LBB30_14
; %bb.9:                                ;   in Loop: Header=BB30_7 Depth=2
	s_mov_b32 s15, exec_lo
                                        ; implicit-def: $vgpr6_vgpr7
	v_cmpx_ne_u32_e64 v8, v2
	s_xor_b32 s15, exec_lo, s15
	s_cbranch_execz .LBB30_11
; %bb.10:                               ;   in Loop: Header=BB30_7 Depth=2
	v_ashrrev_i32_e32 v5, 31, v2
	v_mul_lo_u32 v6, v2, s25
	v_mad_u64_u32 v[3:4], null, v2, s24, 0
	s_delay_alu instid0(VALU_DEP_3) | instskip(NEXT) | instid1(VALU_DEP_1)
	v_mul_lo_u32 v2, v5, s24
	v_add3_u32 v4, v4, v6, v2
	s_delay_alu instid0(VALU_DEP_1) | instskip(NEXT) | instid1(VALU_DEP_1)
	v_lshlrev_b64 v[2:3], 4, v[3:4]
	v_add_co_u32 v2, s2, v17, v2
	s_delay_alu instid0(VALU_DEP_1)
	v_add_co_ci_u32_e64 v3, s2, v18, v3, s2
	global_load_b128 v[4:7], v[2:3], off
.LBB30_11:                              ;   in Loop: Header=BB30_7 Depth=2
	s_and_not1_saveexec_b32 s2, s15
	s_cbranch_execz .LBB30_13
; %bb.12:                               ;   in Loop: Header=BB30_7 Depth=2
	global_load_b64 v[4:5], v[9:10], off
	s_waitcnt vmcnt(1)
	v_mov_b32_e32 v6, 0
	v_mov_b32_e32 v7, 0
.LBB30_13:                              ;   in Loop: Header=BB30_7 Depth=2
	s_or_b32 exec_lo, exec_lo, s2
                                        ; implicit-def: $vgpr2
.LBB30_14:                              ;   in Loop: Header=BB30_7 Depth=2
	s_and_not1_saveexec_b32 s3, s3
	s_cbranch_execz .LBB30_16
; %bb.15:                               ;   in Loop: Header=BB30_7 Depth=2
	v_ashrrev_i32_e32 v3, 31, v2
	s_delay_alu instid0(VALU_DEP_1) | instskip(NEXT) | instid1(VALU_DEP_1)
	v_lshlrev_b64 v[2:3], 4, v[2:3]
	v_add_co_u32 v2, s2, v21, v2
	s_delay_alu instid0(VALU_DEP_1)
	v_add_co_ci_u32_e64 v3, s2, v22, v3, s2
	global_load_b128 v[4:7], v[2:3], off
	s_waitcnt vmcnt(0)
	v_xor_b32_e32 v7, 0x80000000, v7
.LBB30_16:                              ;   in Loop: Header=BB30_7 Depth=2
	s_or_b32 exec_lo, exec_lo, s3
.LBB30_17:                              ;   in Loop: Header=BB30_7 Depth=2
	s_delay_alu instid0(SALU_CYCLE_1)
	s_or_b32 exec_lo, exec_lo, s11
	v_add_nc_u32_e32 v13, s10, v15
	v_dual_mov_b32 v3, v1 :: v_dual_mov_b32 v2, v0
	s_waitcnt vmcnt(0)
	ds_store_b128 v23, v[4:7]
	v_cmp_gt_i32_e64 s2, s37, v13
	s_delay_alu instid0(VALU_DEP_1) | instskip(NEXT) | instid1(SALU_CYCLE_1)
	s_and_b32 s2, s2, vcc_lo
	s_and_saveexec_b32 s3, s2
	s_cbranch_execz .LBB30_19
; %bb.18:                               ;   in Loop: Header=BB30_7 Depth=2
	v_ashrrev_i32_e32 v14, 31, v13
	s_delay_alu instid0(VALU_DEP_1) | instskip(NEXT) | instid1(VALU_DEP_1)
	v_lshlrev_b64 v[0:1], 4, v[13:14]
	v_add_co_u32 v0, s2, v27, v0
	s_delay_alu instid0(VALU_DEP_1)
	v_add_co_ci_u32_e64 v1, s2, v28, v1, s2
	global_load_b128 v[0:3], v[0:1], off
.LBB30_19:                              ;   in Loop: Header=BB30_7 Depth=2
	s_or_b32 exec_lo, exec_lo, s3
	s_waitcnt vmcnt(0)
	ds_store_b128 v24, v[0:3]
	s_waitcnt lgkmcnt(0)
	s_barrier
	buffer_gl0_inv
	s_and_saveexec_b32 s2, s9
	s_cbranch_execz .LBB30_6
; %bb.20:                               ;   in Loop: Header=BB30_7 Depth=2
	v_mov_b32_e32 v0, 0
	v_dual_mov_b32 v1, 0 :: v_dual_mov_b32 v4, v20
	s_mov_b32 s3, 0
	s_delay_alu instid0(VALU_DEP_1)
	v_dual_mov_b32 v3, v1 :: v_dual_mov_b32 v2, v0
.LBB30_21:                              ;   Parent Loop BB30_4 Depth=1
                                        ;     Parent Loop BB30_7 Depth=2
                                        ; =>    This Inner Loop Header: Depth=3
	v_add_nc_u32_e32 v7, s3, v19
	s_addk_i32 s3, 0x80
	ds_load_b128 v[29:32], v4
	ds_load_b128 v[33:36], v7
	ds_load_b128 v[37:40], v4 offset:512
	ds_load_b128 v[41:44], v7 offset:16
	s_cmpk_eq_i32 s3, 0x200
	s_waitcnt lgkmcnt(2)
	v_mul_f64 v[5:6], v[31:32], v[35:36]
	v_mul_f64 v[13:14], v[29:30], v[35:36]
	s_waitcnt lgkmcnt(0)
	v_mul_f64 v[51:52], v[39:40], v[43:44]
	v_mul_f64 v[53:54], v[37:38], v[43:44]
	s_delay_alu instid0(VALU_DEP_4) | instskip(NEXT) | instid1(VALU_DEP_4)
	v_fma_f64 v[5:6], v[29:30], v[33:34], -v[5:6]
	v_fma_f64 v[13:14], v[31:32], v[33:34], v[13:14]
	ds_load_b128 v[29:32], v4 offset:1024
	ds_load_b128 v[33:36], v7 offset:32
	;; [unrolled: 1-line block ×4, first 2 shown]
	v_fma_f64 v[37:38], v[37:38], v[41:42], -v[51:52]
	v_fma_f64 v[39:40], v[39:40], v[41:42], v[53:54]
	s_waitcnt lgkmcnt(2)
	v_mul_f64 v[55:56], v[31:32], v[35:36]
	v_mul_f64 v[35:36], v[29:30], v[35:36]
	v_add_f64 v[0:1], v[0:1], v[5:6]
	v_add_f64 v[2:3], v[2:3], v[13:14]
	s_waitcnt lgkmcnt(0)
	v_mul_f64 v[5:6], v[45:46], v[49:50]
	v_mul_f64 v[13:14], v[43:44], v[49:50]
	v_fma_f64 v[41:42], v[29:30], v[33:34], -v[55:56]
	v_fma_f64 v[49:50], v[31:32], v[33:34], v[35:36]
	v_add_f64 v[51:52], v[0:1], v[37:38]
	v_add_f64 v[53:54], v[2:3], v[39:40]
	ds_load_b128 v[0:3], v4 offset:2048
	ds_load_b128 v[29:32], v7 offset:64
	;; [unrolled: 1-line block ×4, first 2 shown]
	v_fma_f64 v[5:6], v[43:44], v[47:48], -v[5:6]
	v_fma_f64 v[13:14], v[45:46], v[47:48], v[13:14]
	s_waitcnt lgkmcnt(2)
	v_mul_f64 v[55:56], v[2:3], v[31:32]
	v_mul_f64 v[31:32], v[0:1], v[31:32]
	s_waitcnt lgkmcnt(0)
	v_mul_f64 v[47:48], v[35:36], v[39:40]
	v_add_f64 v[41:42], v[51:52], v[41:42]
	v_add_f64 v[43:44], v[53:54], v[49:50]
	v_mul_f64 v[49:50], v[33:34], v[39:40]
	v_fma_f64 v[51:52], v[0:1], v[29:30], -v[55:56]
	v_fma_f64 v[53:54], v[2:3], v[29:30], v[31:32]
	v_fma_f64 v[33:34], v[33:34], v[37:38], -v[47:48]
	v_add_f64 v[5:6], v[41:42], v[5:6]
	v_add_f64 v[13:14], v[43:44], v[13:14]
	ds_load_b128 v[0:3], v4 offset:3072
	ds_load_b128 v[29:32], v7 offset:96
	;; [unrolled: 1-line block ×4, first 2 shown]
	v_fma_f64 v[35:36], v[35:36], v[37:38], v[49:50]
	v_add_nc_u32_e32 v4, 0x1000, v4
	s_waitcnt lgkmcnt(2)
	v_mul_f64 v[55:56], v[2:3], v[31:32]
	v_mul_f64 v[31:32], v[0:1], v[31:32]
	s_waitcnt lgkmcnt(0)
	v_mul_f64 v[37:38], v[41:42], v[45:46]
	v_mul_f64 v[45:46], v[39:40], v[45:46]
	v_add_f64 v[5:6], v[5:6], v[51:52]
	v_add_f64 v[13:14], v[13:14], v[53:54]
	v_fma_f64 v[0:1], v[0:1], v[29:30], -v[55:56]
	v_fma_f64 v[2:3], v[2:3], v[29:30], v[31:32]
	v_fma_f64 v[29:30], v[39:40], v[43:44], -v[37:38]
	v_fma_f64 v[31:32], v[41:42], v[43:44], v[45:46]
	v_add_f64 v[5:6], v[5:6], v[33:34]
	v_add_f64 v[13:14], v[13:14], v[35:36]
	s_delay_alu instid0(VALU_DEP_2) | instskip(NEXT) | instid1(VALU_DEP_2)
	v_add_f64 v[0:1], v[5:6], v[0:1]
	v_add_f64 v[2:3], v[13:14], v[2:3]
	s_delay_alu instid0(VALU_DEP_2) | instskip(NEXT) | instid1(VALU_DEP_2)
	v_add_f64 v[0:1], v[0:1], v[29:30]
	v_add_f64 v[2:3], v[2:3], v[31:32]
	s_cbranch_scc0 .LBB30_21
; %bb.22:                               ;   in Loop: Header=BB30_7 Depth=2
	global_load_b128 v[4:7], v[11:12], off
	v_mul_f64 v[13:14], s[18:19], v[2:3]
	v_mul_f64 v[29:30], s[18:19], v[0:1]
	s_delay_alu instid0(VALU_DEP_2) | instskip(NEXT) | instid1(VALU_DEP_2)
	v_fma_f64 v[0:1], s[16:17], v[0:1], -v[13:14]
	v_fma_f64 v[2:3], s[16:17], v[2:3], v[29:30]
	s_waitcnt vmcnt(0)
	s_delay_alu instid0(VALU_DEP_2) | instskip(NEXT) | instid1(VALU_DEP_2)
	v_add_f64 v[0:1], v[0:1], v[4:5]
	v_add_f64 v[2:3], v[2:3], v[6:7]
	global_store_b128 v[11:12], v[0:3], off
	s_branch .LBB30_6
.LBB30_23:
	s_endpgm
	.section	.rodata,"a",@progbits
	.p2align	6, 0x0
	.amdhsa_kernel _ZL24rocblas_symm_hemm_kernelILb1ELb0ELi32E19rocblas_complex_numIdEPKS1_PS1_EvbiiT2_T3_lllS6_lllT4_llli
		.amdhsa_group_segment_fixed_size 32768
		.amdhsa_private_segment_fixed_size 0
		.amdhsa_kernarg_size 392
		.amdhsa_user_sgpr_count 13
		.amdhsa_user_sgpr_dispatch_ptr 0
		.amdhsa_user_sgpr_queue_ptr 0
		.amdhsa_user_sgpr_kernarg_segment_ptr 1
		.amdhsa_user_sgpr_dispatch_id 0
		.amdhsa_user_sgpr_private_segment_size 0
		.amdhsa_wavefront_size32 1
		.amdhsa_uses_dynamic_stack 0
		.amdhsa_enable_private_segment 0
		.amdhsa_system_sgpr_workgroup_id_x 1
		.amdhsa_system_sgpr_workgroup_id_y 1
		.amdhsa_system_sgpr_workgroup_id_z 1
		.amdhsa_system_sgpr_workgroup_info 0
		.amdhsa_system_vgpr_workitem_id 1
		.amdhsa_next_free_vgpr 57
		.amdhsa_next_free_sgpr 44
		.amdhsa_reserve_vcc 1
		.amdhsa_float_round_mode_32 0
		.amdhsa_float_round_mode_16_64 0
		.amdhsa_float_denorm_mode_32 3
		.amdhsa_float_denorm_mode_16_64 3
		.amdhsa_dx10_clamp 1
		.amdhsa_ieee_mode 1
		.amdhsa_fp16_overflow 0
		.amdhsa_workgroup_processor_mode 1
		.amdhsa_memory_ordered 1
		.amdhsa_forward_progress 0
		.amdhsa_shared_vgpr_count 0
		.amdhsa_exception_fp_ieee_invalid_op 0
		.amdhsa_exception_fp_denorm_src 0
		.amdhsa_exception_fp_ieee_div_zero 0
		.amdhsa_exception_fp_ieee_overflow 0
		.amdhsa_exception_fp_ieee_underflow 0
		.amdhsa_exception_fp_ieee_inexact 0
		.amdhsa_exception_int_div_zero 0
	.end_amdhsa_kernel
	.section	.text._ZL24rocblas_symm_hemm_kernelILb1ELb0ELi32E19rocblas_complex_numIdEPKS1_PS1_EvbiiT2_T3_lllS6_lllT4_llli,"axG",@progbits,_ZL24rocblas_symm_hemm_kernelILb1ELb0ELi32E19rocblas_complex_numIdEPKS1_PS1_EvbiiT2_T3_lllS6_lllT4_llli,comdat
.Lfunc_end30:
	.size	_ZL24rocblas_symm_hemm_kernelILb1ELb0ELi32E19rocblas_complex_numIdEPKS1_PS1_EvbiiT2_T3_lllS6_lllT4_llli, .Lfunc_end30-_ZL24rocblas_symm_hemm_kernelILb1ELb0ELi32E19rocblas_complex_numIdEPKS1_PS1_EvbiiT2_T3_lllS6_lllT4_llli
                                        ; -- End function
	.section	.AMDGPU.csdata,"",@progbits
; Kernel info:
; codeLenInByte = 1812
; NumSgprs: 46
; NumVgprs: 57
; ScratchSize: 0
; MemoryBound: 1
; FloatMode: 240
; IeeeMode: 1
; LDSByteSize: 32768 bytes/workgroup (compile time only)
; SGPRBlocks: 5
; VGPRBlocks: 7
; NumSGPRsForWavesPerEU: 46
; NumVGPRsForWavesPerEU: 57
; Occupancy: 16
; WaveLimiterHint : 0
; COMPUTE_PGM_RSRC2:SCRATCH_EN: 0
; COMPUTE_PGM_RSRC2:USER_SGPR: 13
; COMPUTE_PGM_RSRC2:TRAP_HANDLER: 0
; COMPUTE_PGM_RSRC2:TGID_X_EN: 1
; COMPUTE_PGM_RSRC2:TGID_Y_EN: 1
; COMPUTE_PGM_RSRC2:TGID_Z_EN: 1
; COMPUTE_PGM_RSRC2:TIDIG_COMP_CNT: 1
	.section	.text._ZL24rocblas_symm_hemm_kernelILb1ELb1ELi32E19rocblas_complex_numIdEPKS1_PS1_EvbiiT2_T3_lllS6_lllT4_llli,"axG",@progbits,_ZL24rocblas_symm_hemm_kernelILb1ELb1ELi32E19rocblas_complex_numIdEPKS1_PS1_EvbiiT2_T3_lllS6_lllT4_llli,comdat
	.globl	_ZL24rocblas_symm_hemm_kernelILb1ELb1ELi32E19rocblas_complex_numIdEPKS1_PS1_EvbiiT2_T3_lllS6_lllT4_llli ; -- Begin function _ZL24rocblas_symm_hemm_kernelILb1ELb1ELi32E19rocblas_complex_numIdEPKS1_PS1_EvbiiT2_T3_lllS6_lllT4_llli
	.p2align	8
	.type	_ZL24rocblas_symm_hemm_kernelILb1ELb1ELi32E19rocblas_complex_numIdEPKS1_PS1_EvbiiT2_T3_lllS6_lllT4_llli,@function
_ZL24rocblas_symm_hemm_kernelILb1ELb1ELi32E19rocblas_complex_numIdEPKS1_PS1_EvbiiT2_T3_lllS6_lllT4_llli: ; @_ZL24rocblas_symm_hemm_kernelILb1ELb1ELi32E19rocblas_complex_numIdEPKS1_PS1_EvbiiT2_T3_lllS6_lllT4_llli
; %bb.0:
	s_load_b512 s[16:31], s[0:1], 0x10
	s_waitcnt lgkmcnt(0)
	v_cmp_eq_f64_e64 s2, s[16:17], 0
	v_cmp_eq_f64_e64 s3, s[18:19], 0
	s_delay_alu instid0(VALU_DEP_1) | instskip(NEXT) | instid1(SALU_CYCLE_1)
	s_and_b32 s2, s2, s3
	s_and_b32 vcc_lo, exec_lo, s2
	s_cbranch_vccnz .LBB31_23
; %bb.1:
	s_load_b128 s[36:39], s[0:1], 0x0
	s_waitcnt lgkmcnt(0)
	s_add_i32 s2, s38, -1
	s_delay_alu instid0(SALU_CYCLE_1) | instskip(NEXT) | instid1(SALU_CYCLE_1)
	s_ashr_i32 s3, s2, 31
	s_lshr_b32 s3, s3, 27
	s_delay_alu instid0(SALU_CYCLE_1) | instskip(NEXT) | instid1(SALU_CYCLE_1)
	s_add_i32 s2, s2, s3
	s_ashr_i32 s3, s2, 5
	s_delay_alu instid0(SALU_CYCLE_1)
	s_cmp_gt_i32 s14, s3
	s_cbranch_scc1 .LBB31_23
; %bb.2:
	s_clause 0x1
	s_load_b128 s[40:43], s[0:1], 0x70
	s_load_b256 s[4:11], s[0:1], 0x50
	s_mul_i32 s2, s15, s27
	s_mul_hi_u32 s12, s15, s26
	s_mul_i32 s26, s15, s26
	s_add_i32 s27, s12, s2
	s_load_b32 s12, s[0:1], 0x8c
	s_lshl_b64 s[26:27], s[26:27], 4
	v_and_b32_e32 v15, 0x3ff, v0
	s_add_u32 s2, s20, s26
	s_addc_u32 s26, s21, s27
	s_lshl_b64 s[20:21], s[22:23], 4
	v_bfe_u32 v16, v0, 10, 10
	s_add_u32 s20, s2, s20
	s_addc_u32 s21, s26, s21
	s_bitcmp1_b32 s36, 0
	v_lshl_add_u32 v1, s13, 5, v15
	s_cselect_b32 s0, -1, 0
	v_lshlrev_b32_e32 v0, 4, v16
	v_lshlrev_b32_e32 v17, 9, v15
	s_waitcnt lgkmcnt(0)
	s_mul_i32 s1, s15, s43
	s_mul_hi_u32 s2, s15, s42
	s_mul_i32 s22, s15, s42
	s_add_i32 s23, s2, s1
	s_mul_i32 s1, s15, s7
	s_lshl_b64 s[22:23], s[22:23], 4
	s_mul_hi_u32 s2, s15, s6
	s_add_u32 s7, s8, s22
	s_addc_u32 s13, s9, s23
	s_lshl_b64 s[8:9], s[10:11], 4
	v_ashrrev_i32_e32 v2, 31, v1
	s_add_u32 s8, s7, s8
	s_mul_i32 s6, s15, s6
	s_addc_u32 s9, s13, s9
	s_add_i32 s7, s2, s1
	v_lshlrev_b64 v[2:3], 4, v[1:2]
	s_lshl_b64 s[6:7], s[6:7], 4
	v_or_b32_e32 v18, 0x4000, v0
	s_add_u32 s1, s28, s6
	s_addc_u32 s2, s29, s7
	s_lshl_b64 s[6:7], s[30:31], 4
	v_add_nc_u32_e32 v21, v17, v0
	s_add_u32 s6, s1, s6
	s_addc_u32 s2, s2, s7
	v_add_co_u32 v19, vcc_lo, s6, v2
	v_add_co_ci_u32_e32 v20, vcc_lo, s2, v3, vcc_lo
	v_add_co_u32 v23, vcc_lo, s8, v2
	v_cmp_gt_i32_e64 s1, s37, v1
	v_add_nc_u32_e32 v22, v18, v17
	v_add_co_ci_u32_e32 v24, vcc_lo, s9, v3, vcc_lo
	s_cmp_gt_i32 s38, 0
	s_cselect_b32 s6, -1, 0
	s_branch .LBB31_4
.LBB31_3:                               ;   in Loop: Header=BB31_4 Depth=1
	s_add_i32 s14, s14, s12
	s_delay_alu instid0(SALU_CYCLE_1)
	s_cmp_gt_i32 s14, s3
	s_cbranch_scc1 .LBB31_23
.LBB31_4:                               ; =>This Loop Header: Depth=1
                                        ;     Child Loop BB31_7 Depth 2
                                        ;       Child Loop BB31_21 Depth 3
	s_and_not1_b32 vcc_lo, exec_lo, s6
	s_cbranch_vccnz .LBB31_3
; %bb.5:                                ;   in Loop: Header=BB31_4 Depth=1
	v_lshl_add_u32 v8, s14, 5, v16
	s_mov_b32 s8, 0
	s_delay_alu instid0(VALU_DEP_1) | instskip(SKIP_3) | instid1(VALU_DEP_4)
	v_ashrrev_i32_e32 v9, 31, v8
	v_mul_lo_u32 v4, v8, s25
	v_mad_u64_u32 v[0:1], null, v8, s24, 0
	v_mul_lo_u32 v6, v8, s41
	v_mul_lo_u32 v5, v9, s24
	v_mad_u64_u32 v[2:3], null, v8, s40, 0
	v_mul_lo_u32 v7, v9, s40
	v_cmp_gt_i32_e32 vcc_lo, s38, v8
	s_delay_alu instid0(VALU_DEP_4) | instskip(SKIP_2) | instid1(VALU_DEP_4)
	v_add3_u32 v1, v1, v4, v5
	v_lshlrev_b64 v[4:5], 4, v[8:9]
	s_and_b32 s7, s1, vcc_lo
	v_add3_u32 v3, v3, v6, v7
	s_delay_alu instid0(VALU_DEP_3) | instskip(NEXT) | instid1(VALU_DEP_3)
	v_lshlrev_b64 v[0:1], 4, v[0:1]
	v_add_co_u32 v25, s2, s20, v4
	s_delay_alu instid0(VALU_DEP_3) | instskip(SKIP_1) | instid1(VALU_DEP_4)
	v_lshlrev_b64 v[2:3], 4, v[2:3]
	v_add_co_ci_u32_e64 v26, s2, s21, v5, s2
	v_add_co_u32 v27, s2, s20, v0
	s_delay_alu instid0(VALU_DEP_1) | instskip(NEXT) | instid1(VALU_DEP_4)
	v_add_co_ci_u32_e64 v28, s2, s21, v1, s2
	v_add_co_u32 v9, s2, v23, v2
	s_delay_alu instid0(VALU_DEP_1) | instskip(NEXT) | instid1(VALU_DEP_4)
	v_add_co_ci_u32_e64 v10, s2, v24, v3, s2
	v_add_co_u32 v11, s2, v27, v4
	s_delay_alu instid0(VALU_DEP_1)
	v_add_co_ci_u32_e64 v12, s2, v28, v5, s2
	s_branch .LBB31_7
.LBB31_6:                               ;   in Loop: Header=BB31_7 Depth=2
	s_or_b32 exec_lo, exec_lo, s2
	s_add_i32 s8, s8, 32
	s_waitcnt_vscnt null, 0x0
	s_cmp_ge_i32 s8, s38
	s_barrier
	buffer_gl0_inv
	s_cbranch_scc1 .LBB31_3
.LBB31_7:                               ;   Parent Loop BB31_4 Depth=1
                                        ; =>  This Loop Header: Depth=2
                                        ;       Child Loop BB31_21 Depth 3
	v_add_nc_u32_e32 v2, s8, v16
	v_mov_b32_e32 v0, 0
	v_mov_b32_e32 v1, 0
	s_delay_alu instid0(VALU_DEP_3) | instskip(NEXT) | instid1(VALU_DEP_2)
	v_cmp_gt_i32_e32 vcc_lo, s38, v2
	v_dual_mov_b32 v5, v1 :: v_dual_mov_b32 v4, v0
	v_dual_mov_b32 v7, v1 :: v_dual_mov_b32 v6, v0
	s_and_b32 s9, s1, vcc_lo
	s_delay_alu instid0(SALU_CYCLE_1)
	s_and_saveexec_b32 s2, s9
	s_cbranch_execz .LBB31_9
; %bb.8:                                ;   in Loop: Header=BB31_7 Depth=2
	v_ashrrev_i32_e32 v5, 31, v2
	v_mul_lo_u32 v6, v2, s5
	v_mad_u64_u32 v[3:4], null, v2, s4, 0
	s_delay_alu instid0(VALU_DEP_3) | instskip(NEXT) | instid1(VALU_DEP_1)
	v_mul_lo_u32 v2, v5, s4
	v_add3_u32 v4, v4, v6, v2
	s_delay_alu instid0(VALU_DEP_1) | instskip(NEXT) | instid1(VALU_DEP_1)
	v_lshlrev_b64 v[2:3], 4, v[3:4]
	v_add_co_u32 v2, vcc_lo, v19, v2
	s_delay_alu instid0(VALU_DEP_2)
	v_add_co_ci_u32_e32 v3, vcc_lo, v20, v3, vcc_lo
	global_load_b128 v[4:7], v[2:3], off
.LBB31_9:                               ;   in Loop: Header=BB31_7 Depth=2
	s_or_b32 exec_lo, exec_lo, s2
	v_add_nc_u32_e32 v13, s8, v15
	s_mov_b32 s9, exec_lo
	s_waitcnt vmcnt(0)
	ds_store_b128 v21, v[4:7]
	v_cndmask_b32_e64 v2, v8, v13, s0
	v_cndmask_b32_e64 v3, v13, v8, s0
	s_delay_alu instid0(VALU_DEP_1) | instskip(SKIP_3) | instid1(VALU_DEP_3)
	v_cmp_gt_i32_e32 vcc_lo, v2, v3
	v_dual_cndmask_b32 v14, v13, v8 :: v_dual_cndmask_b32 v29, v8, v13
	v_cmp_le_i32_e32 vcc_lo, v2, v3
	v_dual_mov_b32 v3, v1 :: v_dual_mov_b32 v2, v0
	v_max_i32_e32 v14, v14, v29
	s_delay_alu instid0(VALU_DEP_1)
	v_cmpx_gt_i32_e64 s38, v14
	s_cbranch_execz .LBB31_19
; %bb.10:                               ;   in Loop: Header=BB31_7 Depth=2
                                        ; implicit-def: $vgpr2_vgpr3
	s_and_saveexec_b32 s2, vcc_lo
	s_delay_alu instid0(SALU_CYCLE_1)
	s_xor_b32 s2, exec_lo, s2
	s_cbranch_execz .LBB31_16
; %bb.11:                               ;   in Loop: Header=BB31_7 Depth=2
	s_mov_b32 s10, exec_lo
                                        ; implicit-def: $vgpr2_vgpr3
	v_cmpx_ne_u32_e64 v13, v8
	s_xor_b32 s10, exec_lo, s10
	s_cbranch_execz .LBB31_13
; %bb.12:                               ;   in Loop: Header=BB31_7 Depth=2
	v_ashrrev_i32_e32 v14, 31, v13
	s_delay_alu instid0(VALU_DEP_1) | instskip(NEXT) | instid1(VALU_DEP_1)
	v_lshlrev_b64 v[0:1], 4, v[13:14]
	v_add_co_u32 v0, vcc_lo, v27, v0
	s_delay_alu instid0(VALU_DEP_2)
	v_add_co_ci_u32_e32 v1, vcc_lo, v28, v1, vcc_lo
	global_load_b128 v[0:3], v[0:1], off
.LBB31_13:                              ;   in Loop: Header=BB31_7 Depth=2
	s_and_not1_saveexec_b32 s10, s10
	s_cbranch_execz .LBB31_15
; %bb.14:                               ;   in Loop: Header=BB31_7 Depth=2
	global_load_b64 v[0:1], v[11:12], off
	s_waitcnt vmcnt(1)
	v_mov_b32_e32 v2, 0
	v_mov_b32_e32 v3, 0
.LBB31_15:                              ;   in Loop: Header=BB31_7 Depth=2
	s_or_b32 exec_lo, exec_lo, s10
                                        ; implicit-def: $vgpr13
.LBB31_16:                              ;   in Loop: Header=BB31_7 Depth=2
	s_and_not1_saveexec_b32 s2, s2
	s_cbranch_execz .LBB31_18
; %bb.17:                               ;   in Loop: Header=BB31_7 Depth=2
	s_waitcnt vmcnt(0)
	v_ashrrev_i32_e32 v2, 31, v13
	v_mul_lo_u32 v3, v13, s25
	v_mad_u64_u32 v[0:1], null, v13, s24, 0
	s_delay_alu instid0(VALU_DEP_3) | instskip(NEXT) | instid1(VALU_DEP_1)
	v_mul_lo_u32 v2, v2, s24
	v_add3_u32 v1, v1, v3, v2
	s_delay_alu instid0(VALU_DEP_1) | instskip(NEXT) | instid1(VALU_DEP_1)
	v_lshlrev_b64 v[0:1], 4, v[0:1]
	v_add_co_u32 v0, vcc_lo, v25, v0
	s_delay_alu instid0(VALU_DEP_2)
	v_add_co_ci_u32_e32 v1, vcc_lo, v26, v1, vcc_lo
	global_load_b128 v[0:3], v[0:1], off
	s_waitcnt vmcnt(0)
	v_xor_b32_e32 v3, 0x80000000, v3
.LBB31_18:                              ;   in Loop: Header=BB31_7 Depth=2
	s_or_b32 exec_lo, exec_lo, s2
.LBB31_19:                              ;   in Loop: Header=BB31_7 Depth=2
	s_delay_alu instid0(SALU_CYCLE_1)
	s_or_b32 exec_lo, exec_lo, s9
	s_waitcnt vmcnt(0)
	ds_store_b128 v22, v[0:3]
	s_waitcnt lgkmcnt(0)
	s_barrier
	buffer_gl0_inv
	s_and_saveexec_b32 s2, s7
	s_cbranch_execz .LBB31_6
; %bb.20:                               ;   in Loop: Header=BB31_7 Depth=2
	v_mov_b32_e32 v0, 0
	v_dual_mov_b32 v1, 0 :: v_dual_mov_b32 v4, v18
	s_mov_b32 s9, 0
	s_delay_alu instid0(VALU_DEP_1)
	v_dual_mov_b32 v3, v1 :: v_dual_mov_b32 v2, v0
.LBB31_21:                              ;   Parent Loop BB31_4 Depth=1
                                        ;     Parent Loop BB31_7 Depth=2
                                        ; =>    This Inner Loop Header: Depth=3
	v_add_nc_u32_e32 v7, s9, v17
	s_addk_i32 s9, 0x80
	ds_load_b128 v[29:32], v4
	ds_load_b128 v[33:36], v7
	ds_load_b128 v[37:40], v4 offset:512
	ds_load_b128 v[41:44], v7 offset:16
	s_cmpk_eq_i32 s9, 0x200
	s_waitcnt lgkmcnt(2)
	v_mul_f64 v[5:6], v[31:32], v[35:36]
	v_mul_f64 v[13:14], v[29:30], v[35:36]
	s_waitcnt lgkmcnt(0)
	v_mul_f64 v[51:52], v[39:40], v[43:44]
	v_mul_f64 v[53:54], v[37:38], v[43:44]
	s_delay_alu instid0(VALU_DEP_4) | instskip(NEXT) | instid1(VALU_DEP_4)
	v_fma_f64 v[5:6], v[29:30], v[33:34], -v[5:6]
	v_fma_f64 v[13:14], v[31:32], v[33:34], v[13:14]
	ds_load_b128 v[29:32], v4 offset:1024
	ds_load_b128 v[33:36], v7 offset:32
	;; [unrolled: 1-line block ×4, first 2 shown]
	v_fma_f64 v[37:38], v[37:38], v[41:42], -v[51:52]
	v_fma_f64 v[39:40], v[39:40], v[41:42], v[53:54]
	s_waitcnt lgkmcnt(2)
	v_mul_f64 v[55:56], v[31:32], v[35:36]
	v_mul_f64 v[35:36], v[29:30], v[35:36]
	v_add_f64 v[0:1], v[0:1], v[5:6]
	v_add_f64 v[2:3], v[2:3], v[13:14]
	s_waitcnt lgkmcnt(0)
	v_mul_f64 v[5:6], v[45:46], v[49:50]
	v_mul_f64 v[13:14], v[43:44], v[49:50]
	v_fma_f64 v[41:42], v[29:30], v[33:34], -v[55:56]
	v_fma_f64 v[49:50], v[31:32], v[33:34], v[35:36]
	v_add_f64 v[51:52], v[0:1], v[37:38]
	v_add_f64 v[53:54], v[2:3], v[39:40]
	ds_load_b128 v[0:3], v4 offset:2048
	ds_load_b128 v[29:32], v7 offset:64
	;; [unrolled: 1-line block ×4, first 2 shown]
	v_fma_f64 v[5:6], v[43:44], v[47:48], -v[5:6]
	v_fma_f64 v[13:14], v[45:46], v[47:48], v[13:14]
	s_waitcnt lgkmcnt(2)
	v_mul_f64 v[55:56], v[2:3], v[31:32]
	v_mul_f64 v[31:32], v[0:1], v[31:32]
	s_waitcnt lgkmcnt(0)
	v_mul_f64 v[47:48], v[35:36], v[39:40]
	v_add_f64 v[41:42], v[51:52], v[41:42]
	v_add_f64 v[43:44], v[53:54], v[49:50]
	v_mul_f64 v[49:50], v[33:34], v[39:40]
	v_fma_f64 v[51:52], v[0:1], v[29:30], -v[55:56]
	v_fma_f64 v[53:54], v[2:3], v[29:30], v[31:32]
	v_fma_f64 v[33:34], v[33:34], v[37:38], -v[47:48]
	v_add_f64 v[5:6], v[41:42], v[5:6]
	v_add_f64 v[13:14], v[43:44], v[13:14]
	ds_load_b128 v[0:3], v4 offset:3072
	ds_load_b128 v[29:32], v7 offset:96
	ds_load_b128 v[39:42], v4 offset:3584
	ds_load_b128 v[43:46], v7 offset:112
	v_fma_f64 v[35:36], v[35:36], v[37:38], v[49:50]
	v_add_nc_u32_e32 v4, 0x1000, v4
	s_waitcnt lgkmcnt(2)
	v_mul_f64 v[55:56], v[2:3], v[31:32]
	v_mul_f64 v[31:32], v[0:1], v[31:32]
	s_waitcnt lgkmcnt(0)
	v_mul_f64 v[37:38], v[41:42], v[45:46]
	v_mul_f64 v[45:46], v[39:40], v[45:46]
	v_add_f64 v[5:6], v[5:6], v[51:52]
	v_add_f64 v[13:14], v[13:14], v[53:54]
	v_fma_f64 v[0:1], v[0:1], v[29:30], -v[55:56]
	v_fma_f64 v[2:3], v[2:3], v[29:30], v[31:32]
	v_fma_f64 v[29:30], v[39:40], v[43:44], -v[37:38]
	v_fma_f64 v[31:32], v[41:42], v[43:44], v[45:46]
	v_add_f64 v[5:6], v[5:6], v[33:34]
	v_add_f64 v[13:14], v[13:14], v[35:36]
	s_delay_alu instid0(VALU_DEP_2) | instskip(NEXT) | instid1(VALU_DEP_2)
	v_add_f64 v[0:1], v[5:6], v[0:1]
	v_add_f64 v[2:3], v[13:14], v[2:3]
	s_delay_alu instid0(VALU_DEP_2) | instskip(NEXT) | instid1(VALU_DEP_2)
	v_add_f64 v[0:1], v[0:1], v[29:30]
	v_add_f64 v[2:3], v[2:3], v[31:32]
	s_cbranch_scc0 .LBB31_21
; %bb.22:                               ;   in Loop: Header=BB31_7 Depth=2
	global_load_b128 v[4:7], v[9:10], off
	v_mul_f64 v[13:14], s[18:19], v[2:3]
	v_mul_f64 v[29:30], s[18:19], v[0:1]
	s_delay_alu instid0(VALU_DEP_2) | instskip(NEXT) | instid1(VALU_DEP_2)
	v_fma_f64 v[0:1], s[16:17], v[0:1], -v[13:14]
	v_fma_f64 v[2:3], s[16:17], v[2:3], v[29:30]
	s_waitcnt vmcnt(0)
	s_delay_alu instid0(VALU_DEP_2) | instskip(NEXT) | instid1(VALU_DEP_2)
	v_add_f64 v[0:1], v[0:1], v[4:5]
	v_add_f64 v[2:3], v[2:3], v[6:7]
	global_store_b128 v[9:10], v[0:3], off
	s_branch .LBB31_6
.LBB31_23:
	s_endpgm
	.section	.rodata,"a",@progbits
	.p2align	6, 0x0
	.amdhsa_kernel _ZL24rocblas_symm_hemm_kernelILb1ELb1ELi32E19rocblas_complex_numIdEPKS1_PS1_EvbiiT2_T3_lllS6_lllT4_llli
		.amdhsa_group_segment_fixed_size 32768
		.amdhsa_private_segment_fixed_size 0
		.amdhsa_kernarg_size 392
		.amdhsa_user_sgpr_count 13
		.amdhsa_user_sgpr_dispatch_ptr 0
		.amdhsa_user_sgpr_queue_ptr 0
		.amdhsa_user_sgpr_kernarg_segment_ptr 1
		.amdhsa_user_sgpr_dispatch_id 0
		.amdhsa_user_sgpr_private_segment_size 0
		.amdhsa_wavefront_size32 1
		.amdhsa_uses_dynamic_stack 0
		.amdhsa_enable_private_segment 0
		.amdhsa_system_sgpr_workgroup_id_x 1
		.amdhsa_system_sgpr_workgroup_id_y 1
		.amdhsa_system_sgpr_workgroup_id_z 1
		.amdhsa_system_sgpr_workgroup_info 0
		.amdhsa_system_vgpr_workitem_id 1
		.amdhsa_next_free_vgpr 57
		.amdhsa_next_free_sgpr 44
		.amdhsa_reserve_vcc 1
		.amdhsa_float_round_mode_32 0
		.amdhsa_float_round_mode_16_64 0
		.amdhsa_float_denorm_mode_32 3
		.amdhsa_float_denorm_mode_16_64 3
		.amdhsa_dx10_clamp 1
		.amdhsa_ieee_mode 1
		.amdhsa_fp16_overflow 0
		.amdhsa_workgroup_processor_mode 1
		.amdhsa_memory_ordered 1
		.amdhsa_forward_progress 0
		.amdhsa_shared_vgpr_count 0
		.amdhsa_exception_fp_ieee_invalid_op 0
		.amdhsa_exception_fp_denorm_src 0
		.amdhsa_exception_fp_ieee_div_zero 0
		.amdhsa_exception_fp_ieee_overflow 0
		.amdhsa_exception_fp_ieee_underflow 0
		.amdhsa_exception_fp_ieee_inexact 0
		.amdhsa_exception_int_div_zero 0
	.end_amdhsa_kernel
	.section	.text._ZL24rocblas_symm_hemm_kernelILb1ELb1ELi32E19rocblas_complex_numIdEPKS1_PS1_EvbiiT2_T3_lllS6_lllT4_llli,"axG",@progbits,_ZL24rocblas_symm_hemm_kernelILb1ELb1ELi32E19rocblas_complex_numIdEPKS1_PS1_EvbiiT2_T3_lllS6_lllT4_llli,comdat
.Lfunc_end31:
	.size	_ZL24rocblas_symm_hemm_kernelILb1ELb1ELi32E19rocblas_complex_numIdEPKS1_PS1_EvbiiT2_T3_lllS6_lllT4_llli, .Lfunc_end31-_ZL24rocblas_symm_hemm_kernelILb1ELb1ELi32E19rocblas_complex_numIdEPKS1_PS1_EvbiiT2_T3_lllS6_lllT4_llli
                                        ; -- End function
	.section	.AMDGPU.csdata,"",@progbits
; Kernel info:
; codeLenInByte = 1788
; NumSgprs: 46
; NumVgprs: 57
; ScratchSize: 0
; MemoryBound: 1
; FloatMode: 240
; IeeeMode: 1
; LDSByteSize: 32768 bytes/workgroup (compile time only)
; SGPRBlocks: 5
; VGPRBlocks: 7
; NumSGPRsForWavesPerEU: 46
; NumVGPRsForWavesPerEU: 57
; Occupancy: 16
; WaveLimiterHint : 0
; COMPUTE_PGM_RSRC2:SCRATCH_EN: 0
; COMPUTE_PGM_RSRC2:USER_SGPR: 13
; COMPUTE_PGM_RSRC2:TRAP_HANDLER: 0
; COMPUTE_PGM_RSRC2:TGID_X_EN: 1
; COMPUTE_PGM_RSRC2:TGID_Y_EN: 1
; COMPUTE_PGM_RSRC2:TGID_Z_EN: 1
; COMPUTE_PGM_RSRC2:TIDIG_COMP_CNT: 1
	.section	.text._ZL25rocblas_symm_scale_kernelILi128ELi8EPKfPKPfEviiT1_T2_llli,"axG",@progbits,_ZL25rocblas_symm_scale_kernelILi128ELi8EPKfPKPfEviiT1_T2_llli,comdat
	.globl	_ZL25rocblas_symm_scale_kernelILi128ELi8EPKfPKPfEviiT1_T2_llli ; -- Begin function _ZL25rocblas_symm_scale_kernelILi128ELi8EPKfPKPfEviiT1_T2_llli
	.p2align	8
	.type	_ZL25rocblas_symm_scale_kernelILi128ELi8EPKfPKPfEviiT1_T2_llli,@function
_ZL25rocblas_symm_scale_kernelILi128ELi8EPKfPKPfEviiT1_T2_llli: ; @_ZL25rocblas_symm_scale_kernelILi128ELi8EPKfPKPfEviiT1_T2_llli
; %bb.0:
	s_load_b256 s[4:11], s[0:1], 0x8
	s_mov_b32 s12, s15
	s_waitcnt lgkmcnt(0)
	s_load_b32 s15, s[4:5], 0x0
	s_waitcnt lgkmcnt(0)
	v_cmp_eq_f32_e64 s2, s15, 1.0
	s_delay_alu instid0(VALU_DEP_1)
	s_and_b32 vcc_lo, exec_lo, s2
	s_cbranch_vccnz .LBB32_7
; %bb.1:
	s_load_b64 s[2:3], s[0:1], 0x0
	v_bfe_u32 v2, v0, 10, 10
	v_and_b32_e32 v3, 0x3ff, v0
	v_mov_b32_e32 v1, 0
	s_delay_alu instid0(VALU_DEP_3) | instskip(NEXT) | instid1(VALU_DEP_3)
	v_lshl_add_u32 v0, s14, 3, v2
	v_lshl_add_u32 v2, s13, 7, v3
	s_waitcnt lgkmcnt(0)
	s_ashr_i32 s5, s3, 31
	s_mov_b32 s4, s3
	s_delay_alu instid0(VALU_DEP_1) | instskip(SKIP_1) | instid1(VALU_DEP_2)
	v_cmp_gt_u32_e64 s2, s2, v2
	v_cmp_gt_i64_e32 vcc_lo, s[4:5], v[0:1]
	s_and_b32 s2, s2, vcc_lo
	s_delay_alu instid0(SALU_CYCLE_1)
	s_and_saveexec_b32 s3, s2
	s_cbranch_execz .LBB32_7
; %bb.2:
	v_mad_u64_u32 v[4:5], null, s10, v0, 0
	s_mov_b32 s13, 0
	s_load_b32 s14, s[0:1], 0x3c
	s_lshl_b64 s[0:1], s[12:13], 3
	s_delay_alu instid0(SALU_CYCLE_1) | instskip(SKIP_1) | instid1(VALU_DEP_1)
	s_add_u32 s0, s6, s0
	s_addc_u32 s1, s7, s1
	v_mov_b32_e32 v3, v5
	s_load_b64 s[2:3], s[0:1], 0x0
	s_lshl_b64 s[6:7], s[8:9], 2
	s_delay_alu instid0(VALU_DEP_1) | instskip(SKIP_1) | instid1(VALU_DEP_1)
	v_mad_u64_u32 v[5:6], null, s11, v0, v[3:4]
	v_mov_b32_e32 v3, v1
	v_lshlrev_b64 v[2:3], 2, v[2:3]
	s_delay_alu instid0(VALU_DEP_3) | instskip(SKIP_2) | instid1(SALU_CYCLE_1)
	v_lshlrev_b64 v[4:5], 2, v[4:5]
	s_waitcnt lgkmcnt(0)
	s_lshl_b32 s1, s14, 3
	s_mul_i32 s0, s11, s1
	s_mul_i32 s8, s10, s1
	s_delay_alu instid0(VALU_DEP_1) | instskip(SKIP_2) | instid1(VALU_DEP_2)
	v_add_co_u32 v4, vcc_lo, v4, s6
	v_add_co_ci_u32_e32 v5, vcc_lo, s7, v5, vcc_lo
	s_mul_hi_u32 s6, s10, s1
	v_add_co_u32 v2, vcc_lo, v4, v2
	s_delay_alu instid0(VALU_DEP_2) | instskip(SKIP_1) | instid1(VALU_DEP_2)
	v_add_co_ci_u32_e32 v3, vcc_lo, v5, v3, vcc_lo
	s_add_i32 s9, s6, s0
	v_add_co_u32 v2, vcc_lo, s2, v2
	s_delay_alu instid0(VALU_DEP_2)
	v_add_co_ci_u32_e32 v3, vcc_lo, s3, v3, vcc_lo
	v_cmp_neq_f32_e64 s6, s15, 0
	s_lshl_b64 s[2:3], s[8:9], 2
	s_branch .LBB32_5
	.p2align	6
.LBB32_3:                               ;   in Loop: Header=BB32_5 Depth=1
	global_load_b32 v4, v[2:3], off
	s_waitcnt vmcnt(0)
	v_mul_f32_e32 v4, s15, v4
.LBB32_4:                               ;   in Loop: Header=BB32_5 Depth=1
	v_add_co_u32 v0, vcc_lo, v0, s1
	v_add_co_ci_u32_e32 v1, vcc_lo, 0, v1, vcc_lo
	global_store_b32 v[2:3], v4, off
	v_add_co_u32 v2, s0, v2, s2
	v_cmp_le_i64_e32 vcc_lo, s[4:5], v[0:1]
	v_add_co_ci_u32_e64 v3, s0, s3, v3, s0
	s_or_b32 s13, vcc_lo, s13
	s_delay_alu instid0(SALU_CYCLE_1)
	s_and_not1_b32 exec_lo, exec_lo, s13
	s_cbranch_execz .LBB32_7
.LBB32_5:                               ; =>This Inner Loop Header: Depth=1
	s_delay_alu instid0(VALU_DEP_1)
	s_and_not1_b32 vcc_lo, exec_lo, s6
	s_cbranch_vccz .LBB32_3
; %bb.6:                                ;   in Loop: Header=BB32_5 Depth=1
	v_mov_b32_e32 v4, 0
	s_branch .LBB32_4
.LBB32_7:
	s_nop 0
	s_sendmsg sendmsg(MSG_DEALLOC_VGPRS)
	s_endpgm
	.section	.rodata,"a",@progbits
	.p2align	6, 0x0
	.amdhsa_kernel _ZL25rocblas_symm_scale_kernelILi128ELi8EPKfPKPfEviiT1_T2_llli
		.amdhsa_group_segment_fixed_size 0
		.amdhsa_private_segment_fixed_size 0
		.amdhsa_kernarg_size 312
		.amdhsa_user_sgpr_count 13
		.amdhsa_user_sgpr_dispatch_ptr 0
		.amdhsa_user_sgpr_queue_ptr 0
		.amdhsa_user_sgpr_kernarg_segment_ptr 1
		.amdhsa_user_sgpr_dispatch_id 0
		.amdhsa_user_sgpr_private_segment_size 0
		.amdhsa_wavefront_size32 1
		.amdhsa_uses_dynamic_stack 0
		.amdhsa_enable_private_segment 0
		.amdhsa_system_sgpr_workgroup_id_x 1
		.amdhsa_system_sgpr_workgroup_id_y 1
		.amdhsa_system_sgpr_workgroup_id_z 1
		.amdhsa_system_sgpr_workgroup_info 0
		.amdhsa_system_vgpr_workitem_id 1
		.amdhsa_next_free_vgpr 7
		.amdhsa_next_free_sgpr 16
		.amdhsa_reserve_vcc 1
		.amdhsa_float_round_mode_32 0
		.amdhsa_float_round_mode_16_64 0
		.amdhsa_float_denorm_mode_32 3
		.amdhsa_float_denorm_mode_16_64 3
		.amdhsa_dx10_clamp 1
		.amdhsa_ieee_mode 1
		.amdhsa_fp16_overflow 0
		.amdhsa_workgroup_processor_mode 1
		.amdhsa_memory_ordered 1
		.amdhsa_forward_progress 0
		.amdhsa_shared_vgpr_count 0
		.amdhsa_exception_fp_ieee_invalid_op 0
		.amdhsa_exception_fp_denorm_src 0
		.amdhsa_exception_fp_ieee_div_zero 0
		.amdhsa_exception_fp_ieee_overflow 0
		.amdhsa_exception_fp_ieee_underflow 0
		.amdhsa_exception_fp_ieee_inexact 0
		.amdhsa_exception_int_div_zero 0
	.end_amdhsa_kernel
	.section	.text._ZL25rocblas_symm_scale_kernelILi128ELi8EPKfPKPfEviiT1_T2_llli,"axG",@progbits,_ZL25rocblas_symm_scale_kernelILi128ELi8EPKfPKPfEviiT1_T2_llli,comdat
.Lfunc_end32:
	.size	_ZL25rocblas_symm_scale_kernelILi128ELi8EPKfPKPfEviiT1_T2_llli, .Lfunc_end32-_ZL25rocblas_symm_scale_kernelILi128ELi8EPKfPKPfEviiT1_T2_llli
                                        ; -- End function
	.section	.AMDGPU.csdata,"",@progbits
; Kernel info:
; codeLenInByte = 420
; NumSgprs: 18
; NumVgprs: 7
; ScratchSize: 0
; MemoryBound: 0
; FloatMode: 240
; IeeeMode: 1
; LDSByteSize: 0 bytes/workgroup (compile time only)
; SGPRBlocks: 2
; VGPRBlocks: 0
; NumSGPRsForWavesPerEU: 18
; NumVGPRsForWavesPerEU: 7
; Occupancy: 16
; WaveLimiterHint : 0
; COMPUTE_PGM_RSRC2:SCRATCH_EN: 0
; COMPUTE_PGM_RSRC2:USER_SGPR: 13
; COMPUTE_PGM_RSRC2:TRAP_HANDLER: 0
; COMPUTE_PGM_RSRC2:TGID_X_EN: 1
; COMPUTE_PGM_RSRC2:TGID_Y_EN: 1
; COMPUTE_PGM_RSRC2:TGID_Z_EN: 1
; COMPUTE_PGM_RSRC2:TIDIG_COMP_CNT: 1
	.section	.text._ZL24rocblas_symm_hemm_kernelILb0ELb0ELi32EPKfPKS1_PKPfEvbiiT2_T3_lllS8_lllT4_llli,"axG",@progbits,_ZL24rocblas_symm_hemm_kernelILb0ELb0ELi32EPKfPKS1_PKPfEvbiiT2_T3_lllS8_lllT4_llli,comdat
	.globl	_ZL24rocblas_symm_hemm_kernelILb0ELb0ELi32EPKfPKS1_PKPfEvbiiT2_T3_lllS8_lllT4_llli ; -- Begin function _ZL24rocblas_symm_hemm_kernelILb0ELb0ELi32EPKfPKS1_PKPfEvbiiT2_T3_lllS8_lllT4_llli
	.p2align	8
	.type	_ZL24rocblas_symm_hemm_kernelILb0ELb0ELi32EPKfPKS1_PKPfEvbiiT2_T3_lllS8_lllT4_llli,@function
_ZL24rocblas_symm_hemm_kernelILb0ELb0ELi32EPKfPKS1_PKPfEvbiiT2_T3_lllS8_lllT4_llli: ; @_ZL24rocblas_symm_hemm_kernelILb0ELb0ELi32EPKfPKS1_PKPfEvbiiT2_T3_lllS8_lllT4_llli
; %bb.0:
	s_load_b256 s[4:11], s[0:1], 0x10
	s_waitcnt lgkmcnt(0)
	s_load_b32 s12, s[4:5], 0x0
	s_waitcnt lgkmcnt(0)
	v_cmp_eq_f32_e64 s3, s12, 0
	s_delay_alu instid0(VALU_DEP_1)
	s_and_b32 vcc_lo, exec_lo, s3
	s_cbranch_vccnz .LBB33_13
; %bb.1:
	s_load_b128 s[16:19], s[0:1], 0x0
	s_mov_b32 s2, s15
	s_waitcnt lgkmcnt(0)
	s_add_i32 s3, s18, -1
	s_delay_alu instid0(SALU_CYCLE_1) | instskip(NEXT) | instid1(SALU_CYCLE_1)
	s_ashr_i32 s4, s3, 31
	s_lshr_b32 s4, s4, 27
	s_delay_alu instid0(SALU_CYCLE_1) | instskip(NEXT) | instid1(SALU_CYCLE_1)
	s_add_i32 s3, s3, s4
	s_ashr_i32 s15, s3, 5
	s_delay_alu instid0(SALU_CYCLE_1)
	s_cmp_gt_i32 s14, s15
	s_cbranch_scc1 .LBB33_13
; %bb.2:
	s_mov_b32 s3, 0
	v_and_b32_e32 v6, 0x3ff, v0
	s_lshl_b64 s[24:25], s[2:3], 3
	v_bfe_u32 v5, v0, 10, 10
	s_add_u32 s2, s6, s24
	s_addc_u32 s3, s7, s25
	s_lshl_b64 s[6:7], s[8:9], 2
	s_load_b64 s[4:5], s[2:3], 0x0
	s_load_b128 s[20:23], s[0:1], 0x38
	v_lshl_add_u32 v0, s13, 5, v6
	s_load_b64 s[8:9], s[0:1], 0x48
	v_lshlrev_b32_e32 v2, 2, v5
	v_lshlrev_b32_e32 v7, 7, v6
	s_delay_alu instid0(VALU_DEP_3) | instskip(NEXT) | instid1(VALU_DEP_3)
	v_ashrrev_i32_e32 v1, 31, v0
	v_or_b32_e32 v8, 0x1000, v2
	s_delay_alu instid0(VALU_DEP_3) | instskip(NEXT) | instid1(VALU_DEP_3)
	v_add_nc_u32_e32 v9, v7, v2
	v_lshlrev_b64 v[1:2], 2, v[0:1]
	s_delay_alu instid0(VALU_DEP_3)
	v_add_nc_u32_e32 v10, v8, v7
	v_add_nc_u32_e32 v11, 0x400, v8
	;; [unrolled: 1-line block ×4, first 2 shown]
	s_waitcnt lgkmcnt(0)
	s_add_u32 s3, s4, s6
	s_addc_u32 s19, s5, s7
	s_add_u32 s4, s20, s24
	s_addc_u32 s5, s21, s25
	s_lshl_b64 s[22:23], s[22:23], 2
	s_load_b64 s[26:27], s[4:5], 0x0
	s_clause 0x1
	s_load_b128 s[4:7], s[0:1], 0x58
	s_load_b64 s[20:21], s[0:1], 0x68
	s_waitcnt lgkmcnt(0)
	s_add_u32 s22, s26, s22
	s_addc_u32 s23, s27, s23
	s_add_u32 s4, s4, s24
	s_addc_u32 s5, s5, s25
	s_bitcmp1_b32 s16, 0
	s_load_b64 s[24:25], s[4:5], 0x0
	s_load_b32 s4, s[0:1], 0x84
	s_cselect_b32 s1, -1, 0
	s_lshl_b64 s[6:7], s[6:7], 2
	v_cmp_gt_i32_e64 s0, s17, v0
	s_waitcnt lgkmcnt(0)
	s_add_u32 s2, s24, s6
	s_addc_u32 s5, s25, s7
	v_add_co_u32 v13, vcc_lo, s2, v1
	v_add_co_ci_u32_e32 v14, vcc_lo, s5, v2, vcc_lo
	s_cmp_gt_i32 s17, 0
	s_cselect_b32 s5, -1, 0
	s_branch .LBB33_4
.LBB33_3:                               ;   in Loop: Header=BB33_4 Depth=1
	s_add_i32 s14, s14, s4
	s_delay_alu instid0(SALU_CYCLE_1)
	s_cmp_gt_i32 s14, s15
	s_cbranch_scc1 .LBB33_13
.LBB33_4:                               ; =>This Loop Header: Depth=1
                                        ;     Child Loop BB33_7 Depth 2
	s_and_not1_b32 vcc_lo, exec_lo, s5
	s_cbranch_vccnz .LBB33_3
; %bb.5:                                ;   in Loop: Header=BB33_4 Depth=1
	v_lshl_add_u32 v16, s14, 5, v5
	s_mov_b32 s7, 0
	s_delay_alu instid0(VALU_DEP_1) | instskip(SKIP_3) | instid1(VALU_DEP_4)
	v_ashrrev_i32_e32 v17, 31, v16
	v_mul_lo_u32 v18, v16, s9
	v_mad_u64_u32 v[1:2], null, v16, s8, 0
	v_mul_lo_u32 v20, v16, s21
	v_mul_lo_u32 v19, v17, s8
	v_mad_u64_u32 v[3:4], null, v16, s20, 0
	v_mul_lo_u32 v17, v17, s20
	v_cmp_gt_i32_e32 vcc_lo, s18, v16
	s_delay_alu instid0(VALU_DEP_4) | instskip(SKIP_1) | instid1(VALU_DEP_3)
	v_add3_u32 v2, v2, v18, v19
	s_and_b32 s6, s0, vcc_lo
	v_add3_u32 v4, v4, v20, v17
	s_delay_alu instid0(VALU_DEP_2) | instskip(NEXT) | instid1(VALU_DEP_2)
	v_lshlrev_b64 v[1:2], 2, v[1:2]
	v_lshlrev_b64 v[3:4], 2, v[3:4]
	s_delay_alu instid0(VALU_DEP_2) | instskip(NEXT) | instid1(VALU_DEP_1)
	v_add_co_u32 v16, s2, s22, v1
	v_add_co_ci_u32_e64 v17, s2, s23, v2, s2
	s_delay_alu instid0(VALU_DEP_3) | instskip(NEXT) | instid1(VALU_DEP_1)
	v_add_co_u32 v1, s2, v13, v3
	v_add_co_ci_u32_e64 v2, s2, v14, v4, s2
	s_branch .LBB33_7
.LBB33_6:                               ;   in Loop: Header=BB33_7 Depth=2
	s_or_b32 exec_lo, exec_lo, s2
	s_add_i32 s7, s7, 32
	s_waitcnt_vscnt null, 0x0
	s_cmp_ge_i32 s7, s17
	s_barrier
	buffer_gl0_inv
	s_cbranch_scc1 .LBB33_3
.LBB33_7:                               ;   Parent Loop BB33_4 Depth=1
                                        ; =>  This Inner Loop Header: Depth=2
	v_add_nc_u32_e32 v4, s7, v5
	s_delay_alu instid0(VALU_DEP_1) | instskip(SKIP_1) | instid1(VALU_DEP_1)
	v_cndmask_b32_e64 v3, v4, v0, s1
	v_cndmask_b32_e64 v18, v0, v4, s1
	v_cmp_gt_i32_e64 s2, v3, v18
	v_mov_b32_e32 v18, 0
	s_delay_alu instid0(VALU_DEP_2) | instskip(SKIP_1) | instid1(VALU_DEP_1)
	v_cndmask_b32_e64 v3, v0, v4, s2
	v_cndmask_b32_e64 v4, v4, v0, s2
	v_max_i32_e32 v19, v3, v4
	s_delay_alu instid0(VALU_DEP_1) | instskip(SKIP_1) | instid1(VALU_DEP_2)
	v_cmp_gt_i32_e64 s2, s17, v19
	v_mov_b32_e32 v19, 0
	s_and_saveexec_b32 s13, s2
	s_cbranch_execz .LBB33_9
; %bb.8:                                ;   in Loop: Header=BB33_7 Depth=2
	v_ashrrev_i32_e32 v21, 31, v4
	v_mul_lo_u32 v22, v4, s11
	v_mad_u64_u32 v[19:20], null, v4, s10, 0
	s_delay_alu instid0(VALU_DEP_3) | instskip(NEXT) | instid1(VALU_DEP_1)
	v_mul_lo_u32 v4, v21, s10
	v_add3_u32 v20, v20, v22, v4
	v_ashrrev_i32_e32 v4, 31, v3
	s_delay_alu instid0(VALU_DEP_2) | instskip(NEXT) | instid1(VALU_DEP_2)
	v_lshlrev_b64 v[19:20], 2, v[19:20]
	v_lshlrev_b64 v[3:4], 2, v[3:4]
	s_delay_alu instid0(VALU_DEP_2) | instskip(NEXT) | instid1(VALU_DEP_1)
	v_add_co_u32 v19, s2, s3, v19
	v_add_co_ci_u32_e64 v20, s2, s19, v20, s2
	s_delay_alu instid0(VALU_DEP_2) | instskip(NEXT) | instid1(VALU_DEP_1)
	v_add_co_u32 v3, s2, v19, v3
	v_add_co_ci_u32_e64 v4, s2, v20, v4, s2
	global_load_b32 v19, v[3:4], off
.LBB33_9:                               ;   in Loop: Header=BB33_7 Depth=2
	s_or_b32 exec_lo, exec_lo, s13
	v_add_nc_u32_e32 v3, s7, v6
	s_waitcnt vmcnt(0)
	ds_store_b32 v9, v19
	v_cmp_gt_i32_e64 s2, s17, v3
	s_delay_alu instid0(VALU_DEP_1) | instskip(NEXT) | instid1(SALU_CYCLE_1)
	s_and_b32 s2, s2, vcc_lo
	s_and_saveexec_b32 s13, s2
	s_cbranch_execz .LBB33_11
; %bb.10:                               ;   in Loop: Header=BB33_7 Depth=2
	v_ashrrev_i32_e32 v4, 31, v3
	s_delay_alu instid0(VALU_DEP_1) | instskip(NEXT) | instid1(VALU_DEP_1)
	v_lshlrev_b64 v[3:4], 2, v[3:4]
	v_add_co_u32 v3, s2, v16, v3
	s_delay_alu instid0(VALU_DEP_1)
	v_add_co_ci_u32_e64 v4, s2, v17, v4, s2
	global_load_b32 v18, v[3:4], off
.LBB33_11:                              ;   in Loop: Header=BB33_7 Depth=2
	s_or_b32 exec_lo, exec_lo, s13
	s_waitcnt vmcnt(0)
	ds_store_b32 v10, v18
	s_waitcnt lgkmcnt(0)
	s_barrier
	buffer_gl0_inv
	s_and_saveexec_b32 s2, s6
	s_cbranch_execz .LBB33_6
; %bb.12:                               ;   in Loop: Header=BB33_7 Depth=2
	global_load_b32 v30, v[1:2], off
	ds_load_2addr_b32 v[3:4], v8 offset1:32
	ds_load_b128 v[18:21], v7
	ds_load_2addr_b32 v[26:27], v8 offset0:64 offset1:96
	ds_load_b128 v[22:25], v7 offset:16
	ds_load_2addr_b32 v[28:29], v8 offset0:128 offset1:160
	s_waitcnt lgkmcnt(3)
	v_fma_f32 v31, v18, v3, 0
	s_delay_alu instid0(VALU_DEP_1) | instskip(SKIP_3) | instid1(VALU_DEP_1)
	v_fmac_f32_e32 v31, v19, v4
	ds_load_2addr_b32 v[3:4], v8 offset0:192 offset1:224
	s_waitcnt lgkmcnt(3)
	v_fmac_f32_e32 v31, v20, v26
	v_fmac_f32_e32 v31, v21, v27
	ds_load_2addr_b32 v[26:27], v11 offset1:32
	ds_load_b128 v[18:21], v7 offset:32
	s_waitcnt lgkmcnt(3)
	v_fmac_f32_e32 v31, v22, v28
	s_delay_alu instid0(VALU_DEP_1) | instskip(SKIP_3) | instid1(VALU_DEP_1)
	v_fmac_f32_e32 v31, v23, v29
	ds_load_2addr_b32 v[28:29], v11 offset0:64 offset1:96
	s_waitcnt lgkmcnt(3)
	v_fmac_f32_e32 v31, v24, v3
	v_fmac_f32_e32 v31, v25, v4
	ds_load_b128 v[22:25], v7 offset:48
	ds_load_2addr_b32 v[3:4], v11 offset0:128 offset1:160
	s_waitcnt lgkmcnt(3)
	v_fmac_f32_e32 v31, v18, v26
	s_delay_alu instid0(VALU_DEP_1) | instskip(SKIP_3) | instid1(VALU_DEP_1)
	v_fmac_f32_e32 v31, v19, v27
	ds_load_2addr_b32 v[26:27], v11 offset0:192 offset1:224
	s_waitcnt lgkmcnt(3)
	v_fmac_f32_e32 v31, v20, v28
	v_fmac_f32_e32 v31, v21, v29
	ds_load_2addr_b32 v[28:29], v12 offset1:32
	ds_load_b128 v[18:21], v7 offset:64
	s_waitcnt lgkmcnt(3)
	v_fmac_f32_e32 v31, v22, v3
	s_delay_alu instid0(VALU_DEP_1) | instskip(SKIP_3) | instid1(VALU_DEP_1)
	v_fmac_f32_e32 v31, v23, v4
	ds_load_2addr_b32 v[3:4], v12 offset0:64 offset1:96
	s_waitcnt lgkmcnt(3)
	v_fmac_f32_e32 v31, v24, v26
	v_fmac_f32_e32 v31, v25, v27
	ds_load_b128 v[22:25], v7 offset:80
	ds_load_2addr_b32 v[26:27], v12 offset0:128 offset1:160
	s_waitcnt lgkmcnt(3)
	v_fmac_f32_e32 v31, v18, v28
	s_delay_alu instid0(VALU_DEP_1) | instskip(SKIP_3) | instid1(VALU_DEP_1)
	v_fmac_f32_e32 v31, v19, v29
	ds_load_2addr_b32 v[28:29], v12 offset0:192 offset1:224
	s_waitcnt lgkmcnt(3)
	v_fmac_f32_e32 v31, v20, v3
	v_fmac_f32_e32 v31, v21, v4
	ds_load_2addr_b32 v[3:4], v15 offset1:32
	ds_load_b128 v[18:21], v7 offset:96
	s_waitcnt lgkmcnt(3)
	v_fmac_f32_e32 v31, v22, v26
	s_delay_alu instid0(VALU_DEP_1) | instskip(SKIP_3) | instid1(VALU_DEP_1)
	v_fmac_f32_e32 v31, v23, v27
	ds_load_2addr_b32 v[26:27], v15 offset0:64 offset1:96
	s_waitcnt lgkmcnt(3)
	v_fmac_f32_e32 v31, v24, v28
	v_fmac_f32_e32 v31, v25, v29
	ds_load_b128 v[22:25], v7 offset:112
	ds_load_2addr_b32 v[28:29], v15 offset0:128 offset1:160
	s_waitcnt lgkmcnt(3)
	v_fmac_f32_e32 v31, v18, v3
	s_delay_alu instid0(VALU_DEP_1) | instskip(SKIP_3) | instid1(VALU_DEP_1)
	v_fmac_f32_e32 v31, v19, v4
	ds_load_2addr_b32 v[3:4], v15 offset0:192 offset1:224
	s_waitcnt lgkmcnt(3)
	v_fmac_f32_e32 v31, v20, v26
	v_fmac_f32_e32 v31, v21, v27
	s_waitcnt lgkmcnt(1)
	s_delay_alu instid0(VALU_DEP_1) | instskip(NEXT) | instid1(VALU_DEP_1)
	v_fmac_f32_e32 v31, v22, v28
	v_fmac_f32_e32 v31, v23, v29
	s_waitcnt lgkmcnt(0)
	s_delay_alu instid0(VALU_DEP_1) | instskip(NEXT) | instid1(VALU_DEP_1)
	v_fmac_f32_e32 v31, v24, v3
	v_fmac_f32_e32 v31, v25, v4
	s_waitcnt vmcnt(0)
	s_delay_alu instid0(VALU_DEP_1)
	v_fmac_f32_e32 v30, s12, v31
	global_store_b32 v[1:2], v30, off
	s_branch .LBB33_6
.LBB33_13:
	s_endpgm
	.section	.rodata,"a",@progbits
	.p2align	6, 0x0
	.amdhsa_kernel _ZL24rocblas_symm_hemm_kernelILb0ELb0ELi32EPKfPKS1_PKPfEvbiiT2_T3_lllS8_lllT4_llli
		.amdhsa_group_segment_fixed_size 8192
		.amdhsa_private_segment_fixed_size 0
		.amdhsa_kernarg_size 384
		.amdhsa_user_sgpr_count 13
		.amdhsa_user_sgpr_dispatch_ptr 0
		.amdhsa_user_sgpr_queue_ptr 0
		.amdhsa_user_sgpr_kernarg_segment_ptr 1
		.amdhsa_user_sgpr_dispatch_id 0
		.amdhsa_user_sgpr_private_segment_size 0
		.amdhsa_wavefront_size32 1
		.amdhsa_uses_dynamic_stack 0
		.amdhsa_enable_private_segment 0
		.amdhsa_system_sgpr_workgroup_id_x 1
		.amdhsa_system_sgpr_workgroup_id_y 1
		.amdhsa_system_sgpr_workgroup_id_z 1
		.amdhsa_system_sgpr_workgroup_info 0
		.amdhsa_system_vgpr_workitem_id 1
		.amdhsa_next_free_vgpr 32
		.amdhsa_next_free_sgpr 28
		.amdhsa_reserve_vcc 1
		.amdhsa_float_round_mode_32 0
		.amdhsa_float_round_mode_16_64 0
		.amdhsa_float_denorm_mode_32 3
		.amdhsa_float_denorm_mode_16_64 3
		.amdhsa_dx10_clamp 1
		.amdhsa_ieee_mode 1
		.amdhsa_fp16_overflow 0
		.amdhsa_workgroup_processor_mode 1
		.amdhsa_memory_ordered 1
		.amdhsa_forward_progress 0
		.amdhsa_shared_vgpr_count 0
		.amdhsa_exception_fp_ieee_invalid_op 0
		.amdhsa_exception_fp_denorm_src 0
		.amdhsa_exception_fp_ieee_div_zero 0
		.amdhsa_exception_fp_ieee_overflow 0
		.amdhsa_exception_fp_ieee_underflow 0
		.amdhsa_exception_fp_ieee_inexact 0
		.amdhsa_exception_int_div_zero 0
	.end_amdhsa_kernel
	.section	.text._ZL24rocblas_symm_hemm_kernelILb0ELb0ELi32EPKfPKS1_PKPfEvbiiT2_T3_lllS8_lllT4_llli,"axG",@progbits,_ZL24rocblas_symm_hemm_kernelILb0ELb0ELi32EPKfPKS1_PKPfEvbiiT2_T3_lllS8_lllT4_llli,comdat
.Lfunc_end33:
	.size	_ZL24rocblas_symm_hemm_kernelILb0ELb0ELi32EPKfPKS1_PKPfEvbiiT2_T3_lllS8_lllT4_llli, .Lfunc_end33-_ZL24rocblas_symm_hemm_kernelILb0ELb0ELi32EPKfPKS1_PKPfEvbiiT2_T3_lllS8_lllT4_llli
                                        ; -- End function
	.section	.AMDGPU.csdata,"",@progbits
; Kernel info:
; codeLenInByte = 1384
; NumSgprs: 30
; NumVgprs: 32
; ScratchSize: 0
; MemoryBound: 0
; FloatMode: 240
; IeeeMode: 1
; LDSByteSize: 8192 bytes/workgroup (compile time only)
; SGPRBlocks: 3
; VGPRBlocks: 3
; NumSGPRsForWavesPerEU: 30
; NumVGPRsForWavesPerEU: 32
; Occupancy: 16
; WaveLimiterHint : 1
; COMPUTE_PGM_RSRC2:SCRATCH_EN: 0
; COMPUTE_PGM_RSRC2:USER_SGPR: 13
; COMPUTE_PGM_RSRC2:TRAP_HANDLER: 0
; COMPUTE_PGM_RSRC2:TGID_X_EN: 1
; COMPUTE_PGM_RSRC2:TGID_Y_EN: 1
; COMPUTE_PGM_RSRC2:TGID_Z_EN: 1
; COMPUTE_PGM_RSRC2:TIDIG_COMP_CNT: 1
	.section	.text._ZL24rocblas_symm_hemm_kernelILb0ELb1ELi32EPKfPKS1_PKPfEvbiiT2_T3_lllS8_lllT4_llli,"axG",@progbits,_ZL24rocblas_symm_hemm_kernelILb0ELb1ELi32EPKfPKS1_PKPfEvbiiT2_T3_lllS8_lllT4_llli,comdat
	.globl	_ZL24rocblas_symm_hemm_kernelILb0ELb1ELi32EPKfPKS1_PKPfEvbiiT2_T3_lllS8_lllT4_llli ; -- Begin function _ZL24rocblas_symm_hemm_kernelILb0ELb1ELi32EPKfPKS1_PKPfEvbiiT2_T3_lllS8_lllT4_llli
	.p2align	8
	.type	_ZL24rocblas_symm_hemm_kernelILb0ELb1ELi32EPKfPKS1_PKPfEvbiiT2_T3_lllS8_lllT4_llli,@function
_ZL24rocblas_symm_hemm_kernelILb0ELb1ELi32EPKfPKS1_PKPfEvbiiT2_T3_lllS8_lllT4_llli: ; @_ZL24rocblas_symm_hemm_kernelILb0ELb1ELi32EPKfPKS1_PKPfEvbiiT2_T3_lllS8_lllT4_llli
; %bb.0:
	s_load_b256 s[4:11], s[0:1], 0x10
	s_waitcnt lgkmcnt(0)
	s_load_b32 s12, s[4:5], 0x0
	s_waitcnt lgkmcnt(0)
	v_cmp_eq_f32_e64 s3, s12, 0
	s_delay_alu instid0(VALU_DEP_1)
	s_and_b32 vcc_lo, exec_lo, s3
	s_cbranch_vccnz .LBB34_13
; %bb.1:
	s_load_b128 s[16:19], s[0:1], 0x0
	s_mov_b32 s2, s15
	s_waitcnt lgkmcnt(0)
	s_add_i32 s3, s18, -1
	s_delay_alu instid0(SALU_CYCLE_1) | instskip(NEXT) | instid1(SALU_CYCLE_1)
	s_ashr_i32 s4, s3, 31
	s_lshr_b32 s4, s4, 27
	s_delay_alu instid0(SALU_CYCLE_1) | instskip(NEXT) | instid1(SALU_CYCLE_1)
	s_add_i32 s3, s3, s4
	s_ashr_i32 s15, s3, 5
	s_delay_alu instid0(SALU_CYCLE_1)
	s_cmp_gt_i32 s14, s15
	s_cbranch_scc1 .LBB34_13
; %bb.2:
	s_mov_b32 s3, 0
	v_and_b32_e32 v4, 0x3ff, v0
	s_lshl_b64 s[28:29], s[2:3], 3
	v_bfe_u32 v5, v0, 10, 10
	s_add_u32 s2, s6, s28
	s_addc_u32 s3, s7, s29
	s_lshl_b64 s[8:9], s[8:9], 2
	s_load_b64 s[30:31], s[2:3], 0x0
	s_clause 0x3
	s_load_b128 s[4:7], s[0:1], 0x38
	s_load_b128 s[20:23], s[0:1], 0x58
	s_load_b64 s[24:25], s[0:1], 0x48
	s_load_b64 s[26:27], s[0:1], 0x68
	v_lshl_add_u32 v0, s13, 5, v4
	v_lshlrev_b32_e32 v2, 2, v5
	v_lshlrev_b32_e32 v6, 7, v4
	s_delay_alu instid0(VALU_DEP_3) | instskip(NEXT) | instid1(VALU_DEP_3)
	v_ashrrev_i32_e32 v1, 31, v0
	v_or_b32_e32 v7, 0x1000, v2
	s_delay_alu instid0(VALU_DEP_3) | instskip(NEXT) | instid1(VALU_DEP_2)
	v_add_nc_u32_e32 v8, v6, v2
	v_add_nc_u32_e32 v9, v7, v6
	;; [unrolled: 1-line block ×5, first 2 shown]
	s_waitcnt lgkmcnt(0)
	s_add_u32 s3, s30, s8
	s_addc_u32 s8, s31, s9
	s_add_u32 s4, s4, s28
	s_addc_u32 s5, s5, s29
	;; [unrolled: 2-line block ×3, first 2 shown]
	s_load_b64 s[28:29], s[4:5], 0x0
	s_load_b64 s[20:21], s[20:21], 0x0
	s_load_b32 s4, s[0:1], 0x84
	v_cmp_gt_i32_e64 s0, s17, v0
	v_lshlrev_b64 v[0:1], 2, v[0:1]
	s_bitcmp1_b32 s16, 0
	s_cselect_b32 s1, -1, 0
	s_lshl_b64 s[16:17], s[22:23], 2
	s_waitcnt lgkmcnt(0)
	s_add_u32 s2, s20, s16
	s_addc_u32 s5, s21, s17
	s_lshl_b64 s[6:7], s[6:7], 2
	v_add_co_u32 v12, vcc_lo, s2, v0
	s_add_u32 s6, s28, s6
	v_add_co_ci_u32_e32 v13, vcc_lo, s5, v1, vcc_lo
	s_addc_u32 s2, s29, s7
	v_add_co_u32 v14, vcc_lo, s6, v0
	v_add_co_ci_u32_e32 v15, vcc_lo, s2, v1, vcc_lo
	s_cmp_gt_i32 s18, 0
	s_cselect_b32 s5, -1, 0
	s_branch .LBB34_4
.LBB34_3:                               ;   in Loop: Header=BB34_4 Depth=1
	s_add_i32 s14, s14, s4
	s_delay_alu instid0(SALU_CYCLE_1)
	s_cmp_gt_i32 s14, s15
	s_cbranch_scc1 .LBB34_13
.LBB34_4:                               ; =>This Loop Header: Depth=1
                                        ;     Child Loop BB34_7 Depth 2
	s_and_not1_b32 vcc_lo, exec_lo, s5
	s_cbranch_vccnz .LBB34_3
; %bb.5:                                ;   in Loop: Header=BB34_4 Depth=1
	v_lshl_add_u32 v17, s14, 5, v5
	s_mov_b32 s6, 0
	s_delay_alu instid0(VALU_DEP_1) | instskip(SKIP_3) | instid1(VALU_DEP_4)
	v_ashrrev_i32_e32 v2, 31, v17
	v_mul_lo_u32 v3, v17, s27
	v_mad_u64_u32 v[0:1], null, v17, s26, 0
	v_cmp_gt_i32_e32 vcc_lo, s18, v17
	v_mul_lo_u32 v2, v2, s26
	s_delay_alu instid0(VALU_DEP_1) | instskip(NEXT) | instid1(VALU_DEP_1)
	v_add3_u32 v1, v1, v3, v2
	v_lshlrev_b64 v[0:1], 2, v[0:1]
	s_delay_alu instid0(VALU_DEP_1) | instskip(NEXT) | instid1(VALU_DEP_1)
	v_add_co_u32 v0, s2, v12, v0
	v_add_co_ci_u32_e64 v1, s2, v13, v1, s2
	s_and_b32 s2, s0, vcc_lo
	s_branch .LBB34_7
.LBB34_6:                               ;   in Loop: Header=BB34_7 Depth=2
	s_or_b32 exec_lo, exec_lo, s7
	s_add_i32 s6, s6, 32
	s_waitcnt_vscnt null, 0x0
	s_cmp_ge_i32 s6, s18
	s_barrier
	buffer_gl0_inv
	s_cbranch_scc1 .LBB34_3
.LBB34_7:                               ;   Parent Loop BB34_4 Depth=1
                                        ; =>  This Inner Loop Header: Depth=2
	v_dual_mov_b32 v3, 0 :: v_dual_add_nc_u32 v2, s6, v5
	v_mov_b32_e32 v18, 0
	s_delay_alu instid0(VALU_DEP_2) | instskip(SKIP_1) | instid1(SALU_CYCLE_1)
	v_cmp_gt_i32_e32 vcc_lo, s18, v2
	s_and_b32 s9, s0, vcc_lo
	s_and_saveexec_b32 s7, s9
	s_cbranch_execz .LBB34_9
; %bb.8:                                ;   in Loop: Header=BB34_7 Depth=2
	v_ashrrev_i32_e32 v20, 31, v2
	v_mul_lo_u32 v21, v2, s25
	v_mad_u64_u32 v[18:19], null, v2, s24, 0
	s_delay_alu instid0(VALU_DEP_3) | instskip(NEXT) | instid1(VALU_DEP_1)
	v_mul_lo_u32 v2, v20, s24
	v_add3_u32 v19, v19, v21, v2
	s_delay_alu instid0(VALU_DEP_1) | instskip(NEXT) | instid1(VALU_DEP_1)
	v_lshlrev_b64 v[18:19], 2, v[18:19]
	v_add_co_u32 v18, vcc_lo, v14, v18
	s_delay_alu instid0(VALU_DEP_2)
	v_add_co_ci_u32_e32 v19, vcc_lo, v15, v19, vcc_lo
	global_load_b32 v18, v[18:19], off
.LBB34_9:                               ;   in Loop: Header=BB34_7 Depth=2
	s_or_b32 exec_lo, exec_lo, s7
	v_add_nc_u32_e32 v19, s6, v4
	s_mov_b32 s7, exec_lo
	s_waitcnt vmcnt(0)
	ds_store_b32 v8, v18
	v_cndmask_b32_e64 v2, v17, v19, s1
	v_cndmask_b32_e64 v20, v19, v17, s1
	s_delay_alu instid0(VALU_DEP_1) | instskip(SKIP_1) | instid1(VALU_DEP_1)
	v_cmp_gt_i32_e32 vcc_lo, v2, v20
	v_dual_cndmask_b32 v2, v19, v17 :: v_dual_cndmask_b32 v19, v17, v19
	v_max_i32_e32 v20, v2, v19
	s_delay_alu instid0(VALU_DEP_1)
	v_cmpx_gt_i32_e64 s18, v20
	s_cbranch_execz .LBB34_11
; %bb.10:                               ;   in Loop: Header=BB34_7 Depth=2
	v_ashrrev_i32_e32 v3, 31, v19
	v_mul_lo_u32 v18, v19, s11
	v_mad_u64_u32 v[20:21], null, v19, s10, 0
	s_delay_alu instid0(VALU_DEP_3) | instskip(NEXT) | instid1(VALU_DEP_1)
	v_mul_lo_u32 v3, v3, s10
	v_add3_u32 v21, v21, v18, v3
	v_ashrrev_i32_e32 v3, 31, v2
	s_delay_alu instid0(VALU_DEP_2) | instskip(NEXT) | instid1(VALU_DEP_2)
	v_lshlrev_b64 v[18:19], 2, v[20:21]
	v_lshlrev_b64 v[2:3], 2, v[2:3]
	s_delay_alu instid0(VALU_DEP_2) | instskip(NEXT) | instid1(VALU_DEP_3)
	v_add_co_u32 v18, vcc_lo, s3, v18
	v_add_co_ci_u32_e32 v19, vcc_lo, s8, v19, vcc_lo
	s_delay_alu instid0(VALU_DEP_2) | instskip(NEXT) | instid1(VALU_DEP_2)
	v_add_co_u32 v2, vcc_lo, v18, v2
	v_add_co_ci_u32_e32 v3, vcc_lo, v19, v3, vcc_lo
	global_load_b32 v3, v[2:3], off
.LBB34_11:                              ;   in Loop: Header=BB34_7 Depth=2
	s_or_b32 exec_lo, exec_lo, s7
	s_waitcnt vmcnt(0)
	ds_store_b32 v9, v3
	s_waitcnt lgkmcnt(0)
	s_barrier
	buffer_gl0_inv
	s_and_saveexec_b32 s7, s2
	s_cbranch_execz .LBB34_6
; %bb.12:                               ;   in Loop: Header=BB34_7 Depth=2
	global_load_b32 v30, v[0:1], off
	ds_load_2addr_b32 v[2:3], v7 offset1:32
	ds_load_b128 v[18:21], v6
	ds_load_2addr_b32 v[26:27], v7 offset0:64 offset1:96
	ds_load_b128 v[22:25], v6 offset:16
	ds_load_2addr_b32 v[28:29], v7 offset0:128 offset1:160
	s_waitcnt lgkmcnt(3)
	v_fma_f32 v31, v18, v2, 0
	s_delay_alu instid0(VALU_DEP_1) | instskip(SKIP_3) | instid1(VALU_DEP_1)
	v_fmac_f32_e32 v31, v19, v3
	ds_load_2addr_b32 v[2:3], v7 offset0:192 offset1:224
	s_waitcnt lgkmcnt(3)
	v_fmac_f32_e32 v31, v20, v26
	v_fmac_f32_e32 v31, v21, v27
	ds_load_2addr_b32 v[26:27], v10 offset1:32
	ds_load_b128 v[18:21], v6 offset:32
	s_waitcnt lgkmcnt(3)
	v_fmac_f32_e32 v31, v22, v28
	s_delay_alu instid0(VALU_DEP_1) | instskip(SKIP_3) | instid1(VALU_DEP_1)
	v_fmac_f32_e32 v31, v23, v29
	ds_load_2addr_b32 v[28:29], v10 offset0:64 offset1:96
	s_waitcnt lgkmcnt(3)
	v_fmac_f32_e32 v31, v24, v2
	v_fmac_f32_e32 v31, v25, v3
	ds_load_b128 v[22:25], v6 offset:48
	ds_load_2addr_b32 v[2:3], v10 offset0:128 offset1:160
	s_waitcnt lgkmcnt(3)
	v_fmac_f32_e32 v31, v18, v26
	s_delay_alu instid0(VALU_DEP_1) | instskip(SKIP_3) | instid1(VALU_DEP_1)
	v_fmac_f32_e32 v31, v19, v27
	ds_load_2addr_b32 v[26:27], v10 offset0:192 offset1:224
	s_waitcnt lgkmcnt(3)
	v_fmac_f32_e32 v31, v20, v28
	v_fmac_f32_e32 v31, v21, v29
	ds_load_2addr_b32 v[28:29], v11 offset1:32
	ds_load_b128 v[18:21], v6 offset:64
	s_waitcnt lgkmcnt(3)
	v_fmac_f32_e32 v31, v22, v2
	s_delay_alu instid0(VALU_DEP_1) | instskip(SKIP_3) | instid1(VALU_DEP_1)
	v_fmac_f32_e32 v31, v23, v3
	ds_load_2addr_b32 v[2:3], v11 offset0:64 offset1:96
	s_waitcnt lgkmcnt(3)
	v_fmac_f32_e32 v31, v24, v26
	v_fmac_f32_e32 v31, v25, v27
	ds_load_b128 v[22:25], v6 offset:80
	ds_load_2addr_b32 v[26:27], v11 offset0:128 offset1:160
	s_waitcnt lgkmcnt(3)
	v_fmac_f32_e32 v31, v18, v28
	;; [unrolled: 20-line block ×3, first 2 shown]
	s_delay_alu instid0(VALU_DEP_1) | instskip(SKIP_3) | instid1(VALU_DEP_1)
	v_fmac_f32_e32 v31, v19, v3
	ds_load_2addr_b32 v[2:3], v16 offset0:192 offset1:224
	s_waitcnt lgkmcnt(3)
	v_fmac_f32_e32 v31, v20, v26
	v_fmac_f32_e32 v31, v21, v27
	s_waitcnt lgkmcnt(1)
	s_delay_alu instid0(VALU_DEP_1) | instskip(NEXT) | instid1(VALU_DEP_1)
	v_fmac_f32_e32 v31, v22, v28
	v_fmac_f32_e32 v31, v23, v29
	s_waitcnt lgkmcnt(0)
	s_delay_alu instid0(VALU_DEP_1) | instskip(NEXT) | instid1(VALU_DEP_1)
	v_fmac_f32_e32 v31, v24, v2
	v_fmac_f32_e32 v31, v25, v3
	s_waitcnt vmcnt(0)
	s_delay_alu instid0(VALU_DEP_1)
	v_fmac_f32_e32 v30, s12, v31
	global_store_b32 v[0:1], v30, off
	s_branch .LBB34_6
.LBB34_13:
	s_endpgm
	.section	.rodata,"a",@progbits
	.p2align	6, 0x0
	.amdhsa_kernel _ZL24rocblas_symm_hemm_kernelILb0ELb1ELi32EPKfPKS1_PKPfEvbiiT2_T3_lllS8_lllT4_llli
		.amdhsa_group_segment_fixed_size 8192
		.amdhsa_private_segment_fixed_size 0
		.amdhsa_kernarg_size 384
		.amdhsa_user_sgpr_count 13
		.amdhsa_user_sgpr_dispatch_ptr 0
		.amdhsa_user_sgpr_queue_ptr 0
		.amdhsa_user_sgpr_kernarg_segment_ptr 1
		.amdhsa_user_sgpr_dispatch_id 0
		.amdhsa_user_sgpr_private_segment_size 0
		.amdhsa_wavefront_size32 1
		.amdhsa_uses_dynamic_stack 0
		.amdhsa_enable_private_segment 0
		.amdhsa_system_sgpr_workgroup_id_x 1
		.amdhsa_system_sgpr_workgroup_id_y 1
		.amdhsa_system_sgpr_workgroup_id_z 1
		.amdhsa_system_sgpr_workgroup_info 0
		.amdhsa_system_vgpr_workitem_id 1
		.amdhsa_next_free_vgpr 32
		.amdhsa_next_free_sgpr 32
		.amdhsa_reserve_vcc 1
		.amdhsa_float_round_mode_32 0
		.amdhsa_float_round_mode_16_64 0
		.amdhsa_float_denorm_mode_32 3
		.amdhsa_float_denorm_mode_16_64 3
		.amdhsa_dx10_clamp 1
		.amdhsa_ieee_mode 1
		.amdhsa_fp16_overflow 0
		.amdhsa_workgroup_processor_mode 1
		.amdhsa_memory_ordered 1
		.amdhsa_forward_progress 0
		.amdhsa_shared_vgpr_count 0
		.amdhsa_exception_fp_ieee_invalid_op 0
		.amdhsa_exception_fp_denorm_src 0
		.amdhsa_exception_fp_ieee_div_zero 0
		.amdhsa_exception_fp_ieee_overflow 0
		.amdhsa_exception_fp_ieee_underflow 0
		.amdhsa_exception_fp_ieee_inexact 0
		.amdhsa_exception_int_div_zero 0
	.end_amdhsa_kernel
	.section	.text._ZL24rocblas_symm_hemm_kernelILb0ELb1ELi32EPKfPKS1_PKPfEvbiiT2_T3_lllS8_lllT4_llli,"axG",@progbits,_ZL24rocblas_symm_hemm_kernelILb0ELb1ELi32EPKfPKS1_PKPfEvbiiT2_T3_lllS8_lllT4_llli,comdat
.Lfunc_end34:
	.size	_ZL24rocblas_symm_hemm_kernelILb0ELb1ELi32EPKfPKS1_PKPfEvbiiT2_T3_lllS8_lllT4_llli, .Lfunc_end34-_ZL24rocblas_symm_hemm_kernelILb0ELb1ELi32EPKfPKS1_PKPfEvbiiT2_T3_lllS8_lllT4_llli
                                        ; -- End function
	.section	.AMDGPU.csdata,"",@progbits
; Kernel info:
; codeLenInByte = 1328
; NumSgprs: 34
; NumVgprs: 32
; ScratchSize: 0
; MemoryBound: 0
; FloatMode: 240
; IeeeMode: 1
; LDSByteSize: 8192 bytes/workgroup (compile time only)
; SGPRBlocks: 4
; VGPRBlocks: 3
; NumSGPRsForWavesPerEU: 34
; NumVGPRsForWavesPerEU: 32
; Occupancy: 16
; WaveLimiterHint : 1
; COMPUTE_PGM_RSRC2:SCRATCH_EN: 0
; COMPUTE_PGM_RSRC2:USER_SGPR: 13
; COMPUTE_PGM_RSRC2:TRAP_HANDLER: 0
; COMPUTE_PGM_RSRC2:TGID_X_EN: 1
; COMPUTE_PGM_RSRC2:TGID_Y_EN: 1
; COMPUTE_PGM_RSRC2:TGID_Z_EN: 1
; COMPUTE_PGM_RSRC2:TIDIG_COMP_CNT: 1
	.section	.text._ZL25rocblas_symm_scale_kernelILi128ELi8EfPKPfEviiT1_T2_llli,"axG",@progbits,_ZL25rocblas_symm_scale_kernelILi128ELi8EfPKPfEviiT1_T2_llli,comdat
	.globl	_ZL25rocblas_symm_scale_kernelILi128ELi8EfPKPfEviiT1_T2_llli ; -- Begin function _ZL25rocblas_symm_scale_kernelILi128ELi8EfPKPfEviiT1_T2_llli
	.p2align	8
	.type	_ZL25rocblas_symm_scale_kernelILi128ELi8EfPKPfEviiT1_T2_llli,@function
_ZL25rocblas_symm_scale_kernelILi128ELi8EfPKPfEviiT1_T2_llli: ; @_ZL25rocblas_symm_scale_kernelILi128ELi8EfPKPfEviiT1_T2_llli
; %bb.0:
	s_load_b128 s[4:7], s[0:1], 0x0
	s_waitcnt lgkmcnt(0)
	v_cmp_eq_f32_e64 s2, s6, 1.0
	s_delay_alu instid0(VALU_DEP_1)
	s_and_b32 vcc_lo, exec_lo, s2
	s_cbranch_vccnz .LBB35_7
; %bb.1:
	v_bfe_u32 v1, v0, 10, 10
	v_and_b32_e32 v2, 0x3ff, v0
	s_ashr_i32 s11, s5, 31
	s_mov_b32 s10, s5
	s_delay_alu instid0(VALU_DEP_2) | instskip(SKIP_2) | instid1(VALU_DEP_2)
	v_lshl_add_u32 v0, s14, 3, v1
	v_mov_b32_e32 v1, 0
	v_lshl_add_u32 v2, s13, 7, v2
	v_cmp_gt_i64_e32 vcc_lo, s[10:11], v[0:1]
	s_delay_alu instid0(VALU_DEP_2) | instskip(NEXT) | instid1(VALU_DEP_1)
	v_cmp_gt_u32_e64 s2, s4, v2
	s_and_b32 s2, s2, vcc_lo
	s_delay_alu instid0(SALU_CYCLE_1)
	s_and_saveexec_b32 s3, s2
	s_cbranch_execz .LBB35_7
; %bb.2:
	s_mov_b32 s8, s15
	s_clause 0x1
	s_load_b64 s[2:3], s[0:1], 0x20
	s_load_b128 s[12:15], s[0:1], 0x10
	s_mov_b32 s9, 0
	s_load_b32 s7, s[0:1], 0x3c
	s_lshl_b64 s[0:1], s[8:9], 3
	s_waitcnt lgkmcnt(0)
	v_mad_u64_u32 v[4:5], null, s2, v0, 0
	s_add_u32 s0, s12, s0
	s_addc_u32 s1, s13, s1
	s_lshl_b64 s[12:13], s[14:15], 2
	s_load_b64 s[4:5], s[0:1], 0x0
	s_lshl_b32 s1, s7, 3
	s_delay_alu instid0(VALU_DEP_1) | instskip(SKIP_1) | instid1(VALU_DEP_1)
	v_mov_b32_e32 v3, v5
	s_mul_i32 s0, s3, s1
	v_mad_u64_u32 v[5:6], null, s3, v0, v[3:4]
	v_mov_b32_e32 v3, v1
	s_mul_hi_u32 s3, s2, s1
	s_mul_i32 s2, s2, s1
	s_add_i32 s3, s3, s0
	s_delay_alu instid0(VALU_DEP_1) | instskip(NEXT) | instid1(VALU_DEP_3)
	v_lshlrev_b64 v[2:3], 2, v[2:3]
	v_lshlrev_b64 v[4:5], 2, v[4:5]
	s_lshl_b64 s[2:3], s[2:3], 2
	s_delay_alu instid0(VALU_DEP_1) | instskip(NEXT) | instid1(VALU_DEP_2)
	v_add_co_u32 v4, vcc_lo, v4, s12
	v_add_co_ci_u32_e32 v5, vcc_lo, s13, v5, vcc_lo
	s_delay_alu instid0(VALU_DEP_2) | instskip(NEXT) | instid1(VALU_DEP_2)
	v_add_co_u32 v2, vcc_lo, v4, v2
	v_add_co_ci_u32_e32 v3, vcc_lo, v5, v3, vcc_lo
	s_waitcnt lgkmcnt(0)
	s_delay_alu instid0(VALU_DEP_2) | instskip(NEXT) | instid1(VALU_DEP_2)
	v_add_co_u32 v2, vcc_lo, s4, v2
	v_add_co_ci_u32_e32 v3, vcc_lo, s5, v3, vcc_lo
	v_cmp_neq_f32_e64 s4, s6, 0
	s_branch .LBB35_5
	.p2align	6
.LBB35_3:                               ;   in Loop: Header=BB35_5 Depth=1
	global_load_b32 v4, v[2:3], off
	s_waitcnt vmcnt(0)
	v_mul_f32_e32 v4, s6, v4
.LBB35_4:                               ;   in Loop: Header=BB35_5 Depth=1
	v_add_co_u32 v0, vcc_lo, v0, s1
	v_add_co_ci_u32_e32 v1, vcc_lo, 0, v1, vcc_lo
	global_store_b32 v[2:3], v4, off
	v_add_co_u32 v2, s0, v2, s2
	v_cmp_le_i64_e32 vcc_lo, s[10:11], v[0:1]
	v_add_co_ci_u32_e64 v3, s0, s3, v3, s0
	s_or_b32 s9, vcc_lo, s9
	s_delay_alu instid0(SALU_CYCLE_1)
	s_and_not1_b32 exec_lo, exec_lo, s9
	s_cbranch_execz .LBB35_7
.LBB35_5:                               ; =>This Inner Loop Header: Depth=1
	s_delay_alu instid0(VALU_DEP_1)
	s_and_not1_b32 vcc_lo, exec_lo, s4
	s_cbranch_vccz .LBB35_3
; %bb.6:                                ;   in Loop: Header=BB35_5 Depth=1
	v_mov_b32_e32 v4, 0
	s_branch .LBB35_4
.LBB35_7:
	s_nop 0
	s_sendmsg sendmsg(MSG_DEALLOC_VGPRS)
	s_endpgm
	.section	.rodata,"a",@progbits
	.p2align	6, 0x0
	.amdhsa_kernel _ZL25rocblas_symm_scale_kernelILi128ELi8EfPKPfEviiT1_T2_llli
		.amdhsa_group_segment_fixed_size 0
		.amdhsa_private_segment_fixed_size 0
		.amdhsa_kernarg_size 312
		.amdhsa_user_sgpr_count 13
		.amdhsa_user_sgpr_dispatch_ptr 0
		.amdhsa_user_sgpr_queue_ptr 0
		.amdhsa_user_sgpr_kernarg_segment_ptr 1
		.amdhsa_user_sgpr_dispatch_id 0
		.amdhsa_user_sgpr_private_segment_size 0
		.amdhsa_wavefront_size32 1
		.amdhsa_uses_dynamic_stack 0
		.amdhsa_enable_private_segment 0
		.amdhsa_system_sgpr_workgroup_id_x 1
		.amdhsa_system_sgpr_workgroup_id_y 1
		.amdhsa_system_sgpr_workgroup_id_z 1
		.amdhsa_system_sgpr_workgroup_info 0
		.amdhsa_system_vgpr_workitem_id 1
		.amdhsa_next_free_vgpr 7
		.amdhsa_next_free_sgpr 16
		.amdhsa_reserve_vcc 1
		.amdhsa_float_round_mode_32 0
		.amdhsa_float_round_mode_16_64 0
		.amdhsa_float_denorm_mode_32 3
		.amdhsa_float_denorm_mode_16_64 3
		.amdhsa_dx10_clamp 1
		.amdhsa_ieee_mode 1
		.amdhsa_fp16_overflow 0
		.amdhsa_workgroup_processor_mode 1
		.amdhsa_memory_ordered 1
		.amdhsa_forward_progress 0
		.amdhsa_shared_vgpr_count 0
		.amdhsa_exception_fp_ieee_invalid_op 0
		.amdhsa_exception_fp_denorm_src 0
		.amdhsa_exception_fp_ieee_div_zero 0
		.amdhsa_exception_fp_ieee_overflow 0
		.amdhsa_exception_fp_ieee_underflow 0
		.amdhsa_exception_fp_ieee_inexact 0
		.amdhsa_exception_int_div_zero 0
	.end_amdhsa_kernel
	.section	.text._ZL25rocblas_symm_scale_kernelILi128ELi8EfPKPfEviiT1_T2_llli,"axG",@progbits,_ZL25rocblas_symm_scale_kernelILi128ELi8EfPKPfEviiT1_T2_llli,comdat
.Lfunc_end35:
	.size	_ZL25rocblas_symm_scale_kernelILi128ELi8EfPKPfEviiT1_T2_llli, .Lfunc_end35-_ZL25rocblas_symm_scale_kernelILi128ELi8EfPKPfEviiT1_T2_llli
                                        ; -- End function
	.section	.AMDGPU.csdata,"",@progbits
; Kernel info:
; codeLenInByte = 416
; NumSgprs: 18
; NumVgprs: 7
; ScratchSize: 0
; MemoryBound: 0
; FloatMode: 240
; IeeeMode: 1
; LDSByteSize: 0 bytes/workgroup (compile time only)
; SGPRBlocks: 2
; VGPRBlocks: 0
; NumSGPRsForWavesPerEU: 18
; NumVGPRsForWavesPerEU: 7
; Occupancy: 16
; WaveLimiterHint : 0
; COMPUTE_PGM_RSRC2:SCRATCH_EN: 0
; COMPUTE_PGM_RSRC2:USER_SGPR: 13
; COMPUTE_PGM_RSRC2:TRAP_HANDLER: 0
; COMPUTE_PGM_RSRC2:TGID_X_EN: 1
; COMPUTE_PGM_RSRC2:TGID_Y_EN: 1
; COMPUTE_PGM_RSRC2:TGID_Z_EN: 1
; COMPUTE_PGM_RSRC2:TIDIG_COMP_CNT: 1
	.section	.text._ZL24rocblas_symm_hemm_kernelILb0ELb0ELi32EfPKPKfPKPfEvbiiT2_T3_lllS8_lllT4_llli,"axG",@progbits,_ZL24rocblas_symm_hemm_kernelILb0ELb0ELi32EfPKPKfPKPfEvbiiT2_T3_lllS8_lllT4_llli,comdat
	.globl	_ZL24rocblas_symm_hemm_kernelILb0ELb0ELi32EfPKPKfPKPfEvbiiT2_T3_lllS8_lllT4_llli ; -- Begin function _ZL24rocblas_symm_hemm_kernelILb0ELb0ELi32EfPKPKfPKPfEvbiiT2_T3_lllS8_lllT4_llli
	.p2align	8
	.type	_ZL24rocblas_symm_hemm_kernelILb0ELb0ELi32EfPKPKfPKPfEvbiiT2_T3_lllS8_lllT4_llli,@function
_ZL24rocblas_symm_hemm_kernelILb0ELb0ELi32EfPKPKfPKPfEvbiiT2_T3_lllS8_lllT4_llli: ; @_ZL24rocblas_symm_hemm_kernelILb0ELb0ELi32EfPKPKfPKPfEvbiiT2_T3_lllS8_lllT4_llli
; %bb.0:
	s_load_b128 s[4:7], s[0:1], 0x0
	s_waitcnt lgkmcnt(0)
	v_cmp_eq_f32_e64 s3, s7, 0
	s_delay_alu instid0(VALU_DEP_1)
	s_and_b32 vcc_lo, exec_lo, s3
	s_cbranch_vccnz .LBB36_13
; %bb.1:
	s_add_i32 s3, s6, -1
	s_delay_alu instid0(SALU_CYCLE_1) | instskip(NEXT) | instid1(SALU_CYCLE_1)
	s_ashr_i32 s8, s3, 31
	s_lshr_b32 s8, s8, 27
	s_delay_alu instid0(SALU_CYCLE_1) | instskip(NEXT) | instid1(SALU_CYCLE_1)
	s_add_i32 s3, s3, s8
	s_ashr_i32 s12, s3, 5
	s_delay_alu instid0(SALU_CYCLE_1)
	s_cmp_gt_i32 s14, s12
	s_cbranch_scc1 .LBB36_13
; %bb.2:
	s_clause 0x1
	s_load_b128 s[8:11], s[0:1], 0x10
	s_load_b64 s[16:17], s[0:1], 0x20
	s_mov_b32 s2, s15
	s_mov_b32 s3, 0
	v_and_b32_e32 v6, 0x3ff, v0
	s_lshl_b64 s[24:25], s[2:3], 3
	v_bfe_u32 v5, v0, 10, 10
	s_load_b64 s[18:19], s[0:1], 0x40
	s_delay_alu instid0(VALU_DEP_2) | instskip(SKIP_1) | instid1(VALU_DEP_3)
	v_lshl_add_u32 v0, s13, 5, v6
	v_lshlrev_b32_e32 v7, 7, v6
	v_lshlrev_b32_e32 v2, 2, v5
	s_delay_alu instid0(VALU_DEP_3) | instskip(NEXT) | instid1(VALU_DEP_2)
	v_ashrrev_i32_e32 v1, 31, v0
	v_or_b32_e32 v8, 0x1000, v2
	s_delay_alu instid0(VALU_DEP_4) | instskip(NEXT) | instid1(VALU_DEP_3)
	v_add_nc_u32_e32 v9, v7, v2
	v_lshlrev_b64 v[1:2], 2, v[0:1]
	s_waitcnt lgkmcnt(0)
	s_add_u32 s2, s8, s24
	s_addc_u32 s3, s9, s25
	s_lshl_b64 s[10:11], s[10:11], 2
	s_load_b64 s[8:9], s[2:3], 0x0
	s_load_b128 s[20:23], s[0:1], 0x30
	v_add_nc_u32_e32 v10, v8, v7
	v_add_nc_u32_e32 v11, 0x400, v8
	;; [unrolled: 1-line block ×4, first 2 shown]
	s_waitcnt lgkmcnt(0)
	s_add_u32 s3, s8, s10
	s_addc_u32 s15, s9, s11
	s_add_u32 s8, s20, s24
	s_addc_u32 s9, s21, s25
	s_lshl_b64 s[22:23], s[22:23], 2
	s_load_b64 s[20:21], s[8:9], 0x0
	s_clause 0x1
	s_load_b128 s[8:11], s[0:1], 0x50
	s_load_b32 s13, s[0:1], 0x7c
	s_waitcnt lgkmcnt(0)
	s_add_u32 s20, s20, s22
	s_addc_u32 s21, s21, s23
	s_add_u32 s8, s8, s24
	s_addc_u32 s9, s9, s25
	s_bitcmp1_b32 s4, 0
	s_load_b64 s[22:23], s[8:9], 0x0
	s_load_b64 s[8:9], s[0:1], 0x60
	s_cselect_b32 s1, -1, 0
	s_lshl_b64 s[10:11], s[10:11], 2
	v_cmp_gt_i32_e64 s0, s5, v0
	s_waitcnt lgkmcnt(0)
	s_add_u32 s2, s22, s10
	s_addc_u32 s4, s23, s11
	v_add_co_u32 v13, vcc_lo, s2, v1
	v_add_co_ci_u32_e32 v14, vcc_lo, s4, v2, vcc_lo
	s_cmp_gt_i32 s5, 0
	s_cselect_b32 s4, -1, 0
	s_branch .LBB36_4
.LBB36_3:                               ;   in Loop: Header=BB36_4 Depth=1
	s_add_i32 s14, s14, s13
	s_delay_alu instid0(SALU_CYCLE_1)
	s_cmp_gt_i32 s14, s12
	s_cbranch_scc1 .LBB36_13
.LBB36_4:                               ; =>This Loop Header: Depth=1
                                        ;     Child Loop BB36_7 Depth 2
	s_and_not1_b32 vcc_lo, exec_lo, s4
	s_cbranch_vccnz .LBB36_3
; %bb.5:                                ;   in Loop: Header=BB36_4 Depth=1
	v_lshl_add_u32 v16, s14, 5, v5
	s_mov_b32 s11, 0
	s_delay_alu instid0(VALU_DEP_1) | instskip(SKIP_3) | instid1(VALU_DEP_4)
	v_ashrrev_i32_e32 v17, 31, v16
	v_mul_lo_u32 v18, v16, s19
	v_mad_u64_u32 v[1:2], null, v16, s18, 0
	v_mul_lo_u32 v20, v16, s9
	v_mul_lo_u32 v19, v17, s18
	v_mad_u64_u32 v[3:4], null, v16, s8, 0
	v_mul_lo_u32 v17, v17, s8
	v_cmp_gt_i32_e32 vcc_lo, s6, v16
	s_delay_alu instid0(VALU_DEP_4) | instskip(SKIP_1) | instid1(VALU_DEP_3)
	v_add3_u32 v2, v2, v18, v19
	s_and_b32 s10, s0, vcc_lo
	v_add3_u32 v4, v4, v20, v17
	s_delay_alu instid0(VALU_DEP_2) | instskip(NEXT) | instid1(VALU_DEP_2)
	v_lshlrev_b64 v[1:2], 2, v[1:2]
	v_lshlrev_b64 v[3:4], 2, v[3:4]
	s_delay_alu instid0(VALU_DEP_2) | instskip(NEXT) | instid1(VALU_DEP_1)
	v_add_co_u32 v16, s2, s20, v1
	v_add_co_ci_u32_e64 v17, s2, s21, v2, s2
	s_delay_alu instid0(VALU_DEP_3) | instskip(NEXT) | instid1(VALU_DEP_1)
	v_add_co_u32 v1, s2, v13, v3
	v_add_co_ci_u32_e64 v2, s2, v14, v4, s2
	s_branch .LBB36_7
.LBB36_6:                               ;   in Loop: Header=BB36_7 Depth=2
	s_or_b32 exec_lo, exec_lo, s2
	s_add_i32 s11, s11, 32
	s_waitcnt_vscnt null, 0x0
	s_cmp_ge_i32 s11, s5
	s_barrier
	buffer_gl0_inv
	s_cbranch_scc1 .LBB36_3
.LBB36_7:                               ;   Parent Loop BB36_4 Depth=1
                                        ; =>  This Inner Loop Header: Depth=2
	v_add_nc_u32_e32 v4, s11, v5
	s_delay_alu instid0(VALU_DEP_1) | instskip(SKIP_1) | instid1(VALU_DEP_1)
	v_cndmask_b32_e64 v3, v4, v0, s1
	v_cndmask_b32_e64 v18, v0, v4, s1
	v_cmp_gt_i32_e64 s2, v3, v18
	v_mov_b32_e32 v18, 0
	s_delay_alu instid0(VALU_DEP_2) | instskip(SKIP_1) | instid1(VALU_DEP_1)
	v_cndmask_b32_e64 v3, v0, v4, s2
	v_cndmask_b32_e64 v4, v4, v0, s2
	v_max_i32_e32 v19, v3, v4
	s_delay_alu instid0(VALU_DEP_1) | instskip(SKIP_1) | instid1(VALU_DEP_2)
	v_cmp_gt_i32_e64 s2, s5, v19
	v_mov_b32_e32 v19, 0
	s_and_saveexec_b32 s22, s2
	s_cbranch_execz .LBB36_9
; %bb.8:                                ;   in Loop: Header=BB36_7 Depth=2
	v_ashrrev_i32_e32 v21, 31, v4
	v_mul_lo_u32 v22, v4, s17
	v_mad_u64_u32 v[19:20], null, v4, s16, 0
	s_delay_alu instid0(VALU_DEP_3) | instskip(NEXT) | instid1(VALU_DEP_1)
	v_mul_lo_u32 v4, v21, s16
	v_add3_u32 v20, v20, v22, v4
	v_ashrrev_i32_e32 v4, 31, v3
	s_delay_alu instid0(VALU_DEP_2) | instskip(NEXT) | instid1(VALU_DEP_2)
	v_lshlrev_b64 v[19:20], 2, v[19:20]
	v_lshlrev_b64 v[3:4], 2, v[3:4]
	s_delay_alu instid0(VALU_DEP_2) | instskip(NEXT) | instid1(VALU_DEP_1)
	v_add_co_u32 v19, s2, s3, v19
	v_add_co_ci_u32_e64 v20, s2, s15, v20, s2
	s_delay_alu instid0(VALU_DEP_2) | instskip(NEXT) | instid1(VALU_DEP_1)
	v_add_co_u32 v3, s2, v19, v3
	v_add_co_ci_u32_e64 v4, s2, v20, v4, s2
	global_load_b32 v19, v[3:4], off
.LBB36_9:                               ;   in Loop: Header=BB36_7 Depth=2
	s_or_b32 exec_lo, exec_lo, s22
	v_add_nc_u32_e32 v3, s11, v6
	s_waitcnt vmcnt(0)
	ds_store_b32 v9, v19
	v_cmp_gt_i32_e64 s2, s5, v3
	s_delay_alu instid0(VALU_DEP_1) | instskip(NEXT) | instid1(SALU_CYCLE_1)
	s_and_b32 s2, s2, vcc_lo
	s_and_saveexec_b32 s22, s2
	s_cbranch_execz .LBB36_11
; %bb.10:                               ;   in Loop: Header=BB36_7 Depth=2
	v_ashrrev_i32_e32 v4, 31, v3
	s_delay_alu instid0(VALU_DEP_1) | instskip(NEXT) | instid1(VALU_DEP_1)
	v_lshlrev_b64 v[3:4], 2, v[3:4]
	v_add_co_u32 v3, s2, v16, v3
	s_delay_alu instid0(VALU_DEP_1)
	v_add_co_ci_u32_e64 v4, s2, v17, v4, s2
	global_load_b32 v18, v[3:4], off
.LBB36_11:                              ;   in Loop: Header=BB36_7 Depth=2
	s_or_b32 exec_lo, exec_lo, s22
	s_waitcnt vmcnt(0)
	ds_store_b32 v10, v18
	s_waitcnt lgkmcnt(0)
	s_barrier
	buffer_gl0_inv
	s_and_saveexec_b32 s2, s10
	s_cbranch_execz .LBB36_6
; %bb.12:                               ;   in Loop: Header=BB36_7 Depth=2
	global_load_b32 v30, v[1:2], off
	ds_load_2addr_b32 v[3:4], v8 offset1:32
	ds_load_b128 v[18:21], v7
	ds_load_2addr_b32 v[26:27], v8 offset0:64 offset1:96
	ds_load_b128 v[22:25], v7 offset:16
	ds_load_2addr_b32 v[28:29], v8 offset0:128 offset1:160
	s_waitcnt lgkmcnt(3)
	v_fma_f32 v31, v18, v3, 0
	s_delay_alu instid0(VALU_DEP_1) | instskip(SKIP_3) | instid1(VALU_DEP_1)
	v_fmac_f32_e32 v31, v19, v4
	ds_load_2addr_b32 v[3:4], v8 offset0:192 offset1:224
	s_waitcnt lgkmcnt(3)
	v_fmac_f32_e32 v31, v20, v26
	v_fmac_f32_e32 v31, v21, v27
	ds_load_2addr_b32 v[26:27], v11 offset1:32
	ds_load_b128 v[18:21], v7 offset:32
	s_waitcnt lgkmcnt(3)
	v_fmac_f32_e32 v31, v22, v28
	s_delay_alu instid0(VALU_DEP_1) | instskip(SKIP_3) | instid1(VALU_DEP_1)
	v_fmac_f32_e32 v31, v23, v29
	ds_load_2addr_b32 v[28:29], v11 offset0:64 offset1:96
	s_waitcnt lgkmcnt(3)
	v_fmac_f32_e32 v31, v24, v3
	v_fmac_f32_e32 v31, v25, v4
	ds_load_b128 v[22:25], v7 offset:48
	ds_load_2addr_b32 v[3:4], v11 offset0:128 offset1:160
	s_waitcnt lgkmcnt(3)
	v_fmac_f32_e32 v31, v18, v26
	s_delay_alu instid0(VALU_DEP_1) | instskip(SKIP_3) | instid1(VALU_DEP_1)
	v_fmac_f32_e32 v31, v19, v27
	ds_load_2addr_b32 v[26:27], v11 offset0:192 offset1:224
	s_waitcnt lgkmcnt(3)
	v_fmac_f32_e32 v31, v20, v28
	v_fmac_f32_e32 v31, v21, v29
	ds_load_2addr_b32 v[28:29], v12 offset1:32
	ds_load_b128 v[18:21], v7 offset:64
	s_waitcnt lgkmcnt(3)
	v_fmac_f32_e32 v31, v22, v3
	s_delay_alu instid0(VALU_DEP_1) | instskip(SKIP_3) | instid1(VALU_DEP_1)
	v_fmac_f32_e32 v31, v23, v4
	ds_load_2addr_b32 v[3:4], v12 offset0:64 offset1:96
	s_waitcnt lgkmcnt(3)
	v_fmac_f32_e32 v31, v24, v26
	v_fmac_f32_e32 v31, v25, v27
	ds_load_b128 v[22:25], v7 offset:80
	ds_load_2addr_b32 v[26:27], v12 offset0:128 offset1:160
	s_waitcnt lgkmcnt(3)
	v_fmac_f32_e32 v31, v18, v28
	s_delay_alu instid0(VALU_DEP_1) | instskip(SKIP_3) | instid1(VALU_DEP_1)
	v_fmac_f32_e32 v31, v19, v29
	ds_load_2addr_b32 v[28:29], v12 offset0:192 offset1:224
	s_waitcnt lgkmcnt(3)
	v_fmac_f32_e32 v31, v20, v3
	v_fmac_f32_e32 v31, v21, v4
	ds_load_2addr_b32 v[3:4], v15 offset1:32
	ds_load_b128 v[18:21], v7 offset:96
	s_waitcnt lgkmcnt(3)
	v_fmac_f32_e32 v31, v22, v26
	s_delay_alu instid0(VALU_DEP_1) | instskip(SKIP_3) | instid1(VALU_DEP_1)
	v_fmac_f32_e32 v31, v23, v27
	ds_load_2addr_b32 v[26:27], v15 offset0:64 offset1:96
	s_waitcnt lgkmcnt(3)
	v_fmac_f32_e32 v31, v24, v28
	v_fmac_f32_e32 v31, v25, v29
	ds_load_b128 v[22:25], v7 offset:112
	ds_load_2addr_b32 v[28:29], v15 offset0:128 offset1:160
	s_waitcnt lgkmcnt(3)
	v_fmac_f32_e32 v31, v18, v3
	s_delay_alu instid0(VALU_DEP_1) | instskip(SKIP_3) | instid1(VALU_DEP_1)
	v_fmac_f32_e32 v31, v19, v4
	ds_load_2addr_b32 v[3:4], v15 offset0:192 offset1:224
	s_waitcnt lgkmcnt(3)
	v_fmac_f32_e32 v31, v20, v26
	v_fmac_f32_e32 v31, v21, v27
	s_waitcnt lgkmcnt(1)
	s_delay_alu instid0(VALU_DEP_1) | instskip(NEXT) | instid1(VALU_DEP_1)
	v_fmac_f32_e32 v31, v22, v28
	v_fmac_f32_e32 v31, v23, v29
	s_waitcnt lgkmcnt(0)
	s_delay_alu instid0(VALU_DEP_1) | instskip(NEXT) | instid1(VALU_DEP_1)
	v_fmac_f32_e32 v31, v24, v3
	v_fmac_f32_e32 v31, v25, v4
	s_waitcnt vmcnt(0)
	s_delay_alu instid0(VALU_DEP_1)
	v_fmac_f32_e32 v30, s7, v31
	global_store_b32 v[1:2], v30, off
	s_branch .LBB36_6
.LBB36_13:
	s_endpgm
	.section	.rodata,"a",@progbits
	.p2align	6, 0x0
	.amdhsa_kernel _ZL24rocblas_symm_hemm_kernelILb0ELb0ELi32EfPKPKfPKPfEvbiiT2_T3_lllS8_lllT4_llli
		.amdhsa_group_segment_fixed_size 8192
		.amdhsa_private_segment_fixed_size 0
		.amdhsa_kernarg_size 376
		.amdhsa_user_sgpr_count 13
		.amdhsa_user_sgpr_dispatch_ptr 0
		.amdhsa_user_sgpr_queue_ptr 0
		.amdhsa_user_sgpr_kernarg_segment_ptr 1
		.amdhsa_user_sgpr_dispatch_id 0
		.amdhsa_user_sgpr_private_segment_size 0
		.amdhsa_wavefront_size32 1
		.amdhsa_uses_dynamic_stack 0
		.amdhsa_enable_private_segment 0
		.amdhsa_system_sgpr_workgroup_id_x 1
		.amdhsa_system_sgpr_workgroup_id_y 1
		.amdhsa_system_sgpr_workgroup_id_z 1
		.amdhsa_system_sgpr_workgroup_info 0
		.amdhsa_system_vgpr_workitem_id 1
		.amdhsa_next_free_vgpr 32
		.amdhsa_next_free_sgpr 26
		.amdhsa_reserve_vcc 1
		.amdhsa_float_round_mode_32 0
		.amdhsa_float_round_mode_16_64 0
		.amdhsa_float_denorm_mode_32 3
		.amdhsa_float_denorm_mode_16_64 3
		.amdhsa_dx10_clamp 1
		.amdhsa_ieee_mode 1
		.amdhsa_fp16_overflow 0
		.amdhsa_workgroup_processor_mode 1
		.amdhsa_memory_ordered 1
		.amdhsa_forward_progress 0
		.amdhsa_shared_vgpr_count 0
		.amdhsa_exception_fp_ieee_invalid_op 0
		.amdhsa_exception_fp_denorm_src 0
		.amdhsa_exception_fp_ieee_div_zero 0
		.amdhsa_exception_fp_ieee_overflow 0
		.amdhsa_exception_fp_ieee_underflow 0
		.amdhsa_exception_fp_ieee_inexact 0
		.amdhsa_exception_int_div_zero 0
	.end_amdhsa_kernel
	.section	.text._ZL24rocblas_symm_hemm_kernelILb0ELb0ELi32EfPKPKfPKPfEvbiiT2_T3_lllS8_lllT4_llli,"axG",@progbits,_ZL24rocblas_symm_hemm_kernelILb0ELb0ELi32EfPKPKfPKPfEvbiiT2_T3_lllS8_lllT4_llli,comdat
.Lfunc_end36:
	.size	_ZL24rocblas_symm_hemm_kernelILb0ELb0ELi32EfPKPKfPKPfEvbiiT2_T3_lllS8_lllT4_llli, .Lfunc_end36-_ZL24rocblas_symm_hemm_kernelILb0ELb0ELi32EfPKPKfPKPfEvbiiT2_T3_lllS8_lllT4_llli
                                        ; -- End function
	.section	.AMDGPU.csdata,"",@progbits
; Kernel info:
; codeLenInByte = 1384
; NumSgprs: 28
; NumVgprs: 32
; ScratchSize: 0
; MemoryBound: 0
; FloatMode: 240
; IeeeMode: 1
; LDSByteSize: 8192 bytes/workgroup (compile time only)
; SGPRBlocks: 3
; VGPRBlocks: 3
; NumSGPRsForWavesPerEU: 28
; NumVGPRsForWavesPerEU: 32
; Occupancy: 16
; WaveLimiterHint : 1
; COMPUTE_PGM_RSRC2:SCRATCH_EN: 0
; COMPUTE_PGM_RSRC2:USER_SGPR: 13
; COMPUTE_PGM_RSRC2:TRAP_HANDLER: 0
; COMPUTE_PGM_RSRC2:TGID_X_EN: 1
; COMPUTE_PGM_RSRC2:TGID_Y_EN: 1
; COMPUTE_PGM_RSRC2:TGID_Z_EN: 1
; COMPUTE_PGM_RSRC2:TIDIG_COMP_CNT: 1
	.section	.text._ZL24rocblas_symm_hemm_kernelILb0ELb1ELi32EfPKPKfPKPfEvbiiT2_T3_lllS8_lllT4_llli,"axG",@progbits,_ZL24rocblas_symm_hemm_kernelILb0ELb1ELi32EfPKPKfPKPfEvbiiT2_T3_lllS8_lllT4_llli,comdat
	.globl	_ZL24rocblas_symm_hemm_kernelILb0ELb1ELi32EfPKPKfPKPfEvbiiT2_T3_lllS8_lllT4_llli ; -- Begin function _ZL24rocblas_symm_hemm_kernelILb0ELb1ELi32EfPKPKfPKPfEvbiiT2_T3_lllS8_lllT4_llli
	.p2align	8
	.type	_ZL24rocblas_symm_hemm_kernelILb0ELb1ELi32EfPKPKfPKPfEvbiiT2_T3_lllS8_lllT4_llli,@function
_ZL24rocblas_symm_hemm_kernelILb0ELb1ELi32EfPKPKfPKPfEvbiiT2_T3_lllS8_lllT4_llli: ; @_ZL24rocblas_symm_hemm_kernelILb0ELb1ELi32EfPKPKfPKPfEvbiiT2_T3_lllS8_lllT4_llli
; %bb.0:
	s_load_b128 s[4:7], s[0:1], 0x0
	s_waitcnt lgkmcnt(0)
	v_cmp_eq_f32_e64 s3, s7, 0
	s_delay_alu instid0(VALU_DEP_1)
	s_and_b32 vcc_lo, exec_lo, s3
	s_cbranch_vccnz .LBB37_13
; %bb.1:
	s_add_i32 s3, s6, -1
	s_delay_alu instid0(SALU_CYCLE_1) | instskip(NEXT) | instid1(SALU_CYCLE_1)
	s_ashr_i32 s8, s3, 31
	s_lshr_b32 s8, s8, 27
	s_delay_alu instid0(SALU_CYCLE_1) | instskip(NEXT) | instid1(SALU_CYCLE_1)
	s_add_i32 s3, s3, s8
	s_ashr_i32 s12, s3, 5
	s_delay_alu instid0(SALU_CYCLE_1)
	s_cmp_gt_i32 s14, s12
	s_cbranch_scc1 .LBB37_13
; %bb.2:
	s_clause 0x1
	s_load_b128 s[24:27], s[0:1], 0x10
	s_load_b64 s[20:21], s[0:1], 0x20
	s_mov_b32 s2, s15
	s_mov_b32 s3, 0
	v_and_b32_e32 v4, 0x3ff, v0
	s_lshl_b64 s[28:29], s[2:3], 3
	v_bfe_u32 v5, v0, 10, 10
	s_delay_alu instid0(VALU_DEP_2) | instskip(SKIP_1) | instid1(VALU_DEP_3)
	v_lshl_add_u32 v0, s13, 5, v4
	v_lshlrev_b32_e32 v6, 7, v4
	v_lshlrev_b32_e32 v2, 2, v5
	s_delay_alu instid0(VALU_DEP_3) | instskip(NEXT) | instid1(VALU_DEP_2)
	v_ashrrev_i32_e32 v1, 31, v0
	v_or_b32_e32 v7, 0x1000, v2
	s_delay_alu instid0(VALU_DEP_4)
	v_add_nc_u32_e32 v8, v6, v2
	s_waitcnt lgkmcnt(0)
	s_add_u32 s2, s24, s28
	s_addc_u32 s3, s25, s29
	s_lshl_b64 s[26:27], s[26:27], 2
	s_load_b64 s[24:25], s[2:3], 0x0
	s_clause 0x2
	s_load_b128 s[8:11], s[0:1], 0x30
	s_load_b128 s[16:19], s[0:1], 0x50
	s_load_b64 s[22:23], s[0:1], 0x40
	v_add_nc_u32_e32 v9, v7, v6
	v_add_nc_u32_e32 v10, 0x400, v7
	;; [unrolled: 1-line block ×4, first 2 shown]
	s_load_b32 s13, s[0:1], 0x7c
	s_waitcnt lgkmcnt(0)
	s_add_u32 s3, s24, s26
	s_addc_u32 s15, s25, s27
	s_add_u32 s8, s8, s28
	s_addc_u32 s9, s9, s29
	;; [unrolled: 2-line block ×3, first 2 shown]
	s_load_b64 s[24:25], s[8:9], 0x0
	s_load_b64 s[16:17], s[16:17], 0x0
	;; [unrolled: 1-line block ×3, first 2 shown]
	v_cmp_gt_i32_e64 s0, s5, v0
	v_lshlrev_b64 v[0:1], 2, v[0:1]
	s_bitcmp1_b32 s4, 0
	s_cselect_b32 s1, -1, 0
	s_lshl_b64 s[4:5], s[18:19], 2
	s_waitcnt lgkmcnt(0)
	s_add_u32 s2, s16, s4
	s_addc_u32 s16, s17, s5
	s_lshl_b64 s[4:5], s[10:11], 2
	v_add_co_u32 v12, vcc_lo, s2, v0
	s_add_u32 s4, s24, s4
	v_add_co_ci_u32_e32 v13, vcc_lo, s16, v1, vcc_lo
	s_addc_u32 s2, s25, s5
	v_add_co_u32 v14, vcc_lo, s4, v0
	v_add_co_ci_u32_e32 v15, vcc_lo, s2, v1, vcc_lo
	s_cmp_gt_i32 s6, 0
	s_cselect_b32 s4, -1, 0
	s_branch .LBB37_4
.LBB37_3:                               ;   in Loop: Header=BB37_4 Depth=1
	s_add_i32 s14, s14, s13
	s_delay_alu instid0(SALU_CYCLE_1)
	s_cmp_gt_i32 s14, s12
	s_cbranch_scc1 .LBB37_13
.LBB37_4:                               ; =>This Loop Header: Depth=1
                                        ;     Child Loop BB37_7 Depth 2
	s_and_not1_b32 vcc_lo, exec_lo, s4
	s_cbranch_vccnz .LBB37_3
; %bb.5:                                ;   in Loop: Header=BB37_4 Depth=1
	v_lshl_add_u32 v17, s14, 5, v5
	s_mov_b32 s5, 0
	s_delay_alu instid0(VALU_DEP_1) | instskip(SKIP_3) | instid1(VALU_DEP_4)
	v_ashrrev_i32_e32 v2, 31, v17
	v_mul_lo_u32 v3, v17, s9
	v_mad_u64_u32 v[0:1], null, v17, s8, 0
	v_cmp_gt_i32_e32 vcc_lo, s6, v17
	v_mul_lo_u32 v2, v2, s8
	s_delay_alu instid0(VALU_DEP_1) | instskip(NEXT) | instid1(VALU_DEP_1)
	v_add3_u32 v1, v1, v3, v2
	v_lshlrev_b64 v[0:1], 2, v[0:1]
	s_delay_alu instid0(VALU_DEP_1) | instskip(NEXT) | instid1(VALU_DEP_1)
	v_add_co_u32 v0, s2, v12, v0
	v_add_co_ci_u32_e64 v1, s2, v13, v1, s2
	s_and_b32 s2, s0, vcc_lo
	s_branch .LBB37_7
.LBB37_6:                               ;   in Loop: Header=BB37_7 Depth=2
	s_or_b32 exec_lo, exec_lo, s10
	s_add_i32 s5, s5, 32
	s_waitcnt_vscnt null, 0x0
	s_cmp_ge_i32 s5, s6
	s_barrier
	buffer_gl0_inv
	s_cbranch_scc1 .LBB37_3
.LBB37_7:                               ;   Parent Loop BB37_4 Depth=1
                                        ; =>  This Inner Loop Header: Depth=2
	v_dual_mov_b32 v3, 0 :: v_dual_add_nc_u32 v2, s5, v5
	v_mov_b32_e32 v18, 0
	s_delay_alu instid0(VALU_DEP_2) | instskip(SKIP_1) | instid1(SALU_CYCLE_1)
	v_cmp_gt_i32_e32 vcc_lo, s6, v2
	s_and_b32 s11, s0, vcc_lo
	s_and_saveexec_b32 s10, s11
	s_cbranch_execz .LBB37_9
; %bb.8:                                ;   in Loop: Header=BB37_7 Depth=2
	v_ashrrev_i32_e32 v20, 31, v2
	v_mul_lo_u32 v21, v2, s23
	v_mad_u64_u32 v[18:19], null, v2, s22, 0
	s_delay_alu instid0(VALU_DEP_3) | instskip(NEXT) | instid1(VALU_DEP_1)
	v_mul_lo_u32 v2, v20, s22
	v_add3_u32 v19, v19, v21, v2
	s_delay_alu instid0(VALU_DEP_1) | instskip(NEXT) | instid1(VALU_DEP_1)
	v_lshlrev_b64 v[18:19], 2, v[18:19]
	v_add_co_u32 v18, vcc_lo, v14, v18
	s_delay_alu instid0(VALU_DEP_2)
	v_add_co_ci_u32_e32 v19, vcc_lo, v15, v19, vcc_lo
	global_load_b32 v18, v[18:19], off
.LBB37_9:                               ;   in Loop: Header=BB37_7 Depth=2
	s_or_b32 exec_lo, exec_lo, s10
	v_add_nc_u32_e32 v19, s5, v4
	s_mov_b32 s10, exec_lo
	s_waitcnt vmcnt(0)
	ds_store_b32 v8, v18
	v_cndmask_b32_e64 v2, v17, v19, s1
	v_cndmask_b32_e64 v20, v19, v17, s1
	s_delay_alu instid0(VALU_DEP_1) | instskip(SKIP_1) | instid1(VALU_DEP_1)
	v_cmp_gt_i32_e32 vcc_lo, v2, v20
	v_dual_cndmask_b32 v2, v19, v17 :: v_dual_cndmask_b32 v19, v17, v19
	v_max_i32_e32 v20, v2, v19
	s_delay_alu instid0(VALU_DEP_1)
	v_cmpx_gt_i32_e64 s6, v20
	s_cbranch_execz .LBB37_11
; %bb.10:                               ;   in Loop: Header=BB37_7 Depth=2
	v_ashrrev_i32_e32 v3, 31, v19
	v_mul_lo_u32 v18, v19, s21
	v_mad_u64_u32 v[20:21], null, v19, s20, 0
	s_delay_alu instid0(VALU_DEP_3) | instskip(NEXT) | instid1(VALU_DEP_1)
	v_mul_lo_u32 v3, v3, s20
	v_add3_u32 v21, v21, v18, v3
	v_ashrrev_i32_e32 v3, 31, v2
	s_delay_alu instid0(VALU_DEP_2) | instskip(NEXT) | instid1(VALU_DEP_2)
	v_lshlrev_b64 v[18:19], 2, v[20:21]
	v_lshlrev_b64 v[2:3], 2, v[2:3]
	s_delay_alu instid0(VALU_DEP_2) | instskip(NEXT) | instid1(VALU_DEP_3)
	v_add_co_u32 v18, vcc_lo, s3, v18
	v_add_co_ci_u32_e32 v19, vcc_lo, s15, v19, vcc_lo
	s_delay_alu instid0(VALU_DEP_2) | instskip(NEXT) | instid1(VALU_DEP_2)
	v_add_co_u32 v2, vcc_lo, v18, v2
	v_add_co_ci_u32_e32 v3, vcc_lo, v19, v3, vcc_lo
	global_load_b32 v3, v[2:3], off
.LBB37_11:                              ;   in Loop: Header=BB37_7 Depth=2
	s_or_b32 exec_lo, exec_lo, s10
	s_waitcnt vmcnt(0)
	ds_store_b32 v9, v3
	s_waitcnt lgkmcnt(0)
	s_barrier
	buffer_gl0_inv
	s_and_saveexec_b32 s10, s2
	s_cbranch_execz .LBB37_6
; %bb.12:                               ;   in Loop: Header=BB37_7 Depth=2
	global_load_b32 v30, v[0:1], off
	ds_load_2addr_b32 v[2:3], v7 offset1:32
	ds_load_b128 v[18:21], v6
	ds_load_2addr_b32 v[26:27], v7 offset0:64 offset1:96
	ds_load_b128 v[22:25], v6 offset:16
	ds_load_2addr_b32 v[28:29], v7 offset0:128 offset1:160
	s_waitcnt lgkmcnt(3)
	v_fma_f32 v31, v18, v2, 0
	s_delay_alu instid0(VALU_DEP_1) | instskip(SKIP_3) | instid1(VALU_DEP_1)
	v_fmac_f32_e32 v31, v19, v3
	ds_load_2addr_b32 v[2:3], v7 offset0:192 offset1:224
	s_waitcnt lgkmcnt(3)
	v_fmac_f32_e32 v31, v20, v26
	v_fmac_f32_e32 v31, v21, v27
	ds_load_2addr_b32 v[26:27], v10 offset1:32
	ds_load_b128 v[18:21], v6 offset:32
	s_waitcnt lgkmcnt(3)
	v_fmac_f32_e32 v31, v22, v28
	s_delay_alu instid0(VALU_DEP_1) | instskip(SKIP_3) | instid1(VALU_DEP_1)
	v_fmac_f32_e32 v31, v23, v29
	ds_load_2addr_b32 v[28:29], v10 offset0:64 offset1:96
	s_waitcnt lgkmcnt(3)
	v_fmac_f32_e32 v31, v24, v2
	v_fmac_f32_e32 v31, v25, v3
	ds_load_b128 v[22:25], v6 offset:48
	ds_load_2addr_b32 v[2:3], v10 offset0:128 offset1:160
	s_waitcnt lgkmcnt(3)
	v_fmac_f32_e32 v31, v18, v26
	s_delay_alu instid0(VALU_DEP_1) | instskip(SKIP_3) | instid1(VALU_DEP_1)
	v_fmac_f32_e32 v31, v19, v27
	ds_load_2addr_b32 v[26:27], v10 offset0:192 offset1:224
	s_waitcnt lgkmcnt(3)
	v_fmac_f32_e32 v31, v20, v28
	v_fmac_f32_e32 v31, v21, v29
	ds_load_2addr_b32 v[28:29], v11 offset1:32
	ds_load_b128 v[18:21], v6 offset:64
	s_waitcnt lgkmcnt(3)
	v_fmac_f32_e32 v31, v22, v2
	s_delay_alu instid0(VALU_DEP_1) | instskip(SKIP_3) | instid1(VALU_DEP_1)
	v_fmac_f32_e32 v31, v23, v3
	ds_load_2addr_b32 v[2:3], v11 offset0:64 offset1:96
	s_waitcnt lgkmcnt(3)
	v_fmac_f32_e32 v31, v24, v26
	v_fmac_f32_e32 v31, v25, v27
	ds_load_b128 v[22:25], v6 offset:80
	ds_load_2addr_b32 v[26:27], v11 offset0:128 offset1:160
	s_waitcnt lgkmcnt(3)
	v_fmac_f32_e32 v31, v18, v28
	;; [unrolled: 20-line block ×3, first 2 shown]
	s_delay_alu instid0(VALU_DEP_1) | instskip(SKIP_3) | instid1(VALU_DEP_1)
	v_fmac_f32_e32 v31, v19, v3
	ds_load_2addr_b32 v[2:3], v16 offset0:192 offset1:224
	s_waitcnt lgkmcnt(3)
	v_fmac_f32_e32 v31, v20, v26
	v_fmac_f32_e32 v31, v21, v27
	s_waitcnt lgkmcnt(1)
	s_delay_alu instid0(VALU_DEP_1) | instskip(NEXT) | instid1(VALU_DEP_1)
	v_fmac_f32_e32 v31, v22, v28
	v_fmac_f32_e32 v31, v23, v29
	s_waitcnt lgkmcnt(0)
	s_delay_alu instid0(VALU_DEP_1) | instskip(NEXT) | instid1(VALU_DEP_1)
	v_fmac_f32_e32 v31, v24, v2
	v_fmac_f32_e32 v31, v25, v3
	s_waitcnt vmcnt(0)
	s_delay_alu instid0(VALU_DEP_1)
	v_fmac_f32_e32 v30, s7, v31
	global_store_b32 v[0:1], v30, off
	s_branch .LBB37_6
.LBB37_13:
	s_endpgm
	.section	.rodata,"a",@progbits
	.p2align	6, 0x0
	.amdhsa_kernel _ZL24rocblas_symm_hemm_kernelILb0ELb1ELi32EfPKPKfPKPfEvbiiT2_T3_lllS8_lllT4_llli
		.amdhsa_group_segment_fixed_size 8192
		.amdhsa_private_segment_fixed_size 0
		.amdhsa_kernarg_size 376
		.amdhsa_user_sgpr_count 13
		.amdhsa_user_sgpr_dispatch_ptr 0
		.amdhsa_user_sgpr_queue_ptr 0
		.amdhsa_user_sgpr_kernarg_segment_ptr 1
		.amdhsa_user_sgpr_dispatch_id 0
		.amdhsa_user_sgpr_private_segment_size 0
		.amdhsa_wavefront_size32 1
		.amdhsa_uses_dynamic_stack 0
		.amdhsa_enable_private_segment 0
		.amdhsa_system_sgpr_workgroup_id_x 1
		.amdhsa_system_sgpr_workgroup_id_y 1
		.amdhsa_system_sgpr_workgroup_id_z 1
		.amdhsa_system_sgpr_workgroup_info 0
		.amdhsa_system_vgpr_workitem_id 1
		.amdhsa_next_free_vgpr 32
		.amdhsa_next_free_sgpr 30
		.amdhsa_reserve_vcc 1
		.amdhsa_float_round_mode_32 0
		.amdhsa_float_round_mode_16_64 0
		.amdhsa_float_denorm_mode_32 3
		.amdhsa_float_denorm_mode_16_64 3
		.amdhsa_dx10_clamp 1
		.amdhsa_ieee_mode 1
		.amdhsa_fp16_overflow 0
		.amdhsa_workgroup_processor_mode 1
		.amdhsa_memory_ordered 1
		.amdhsa_forward_progress 0
		.amdhsa_shared_vgpr_count 0
		.amdhsa_exception_fp_ieee_invalid_op 0
		.amdhsa_exception_fp_denorm_src 0
		.amdhsa_exception_fp_ieee_div_zero 0
		.amdhsa_exception_fp_ieee_overflow 0
		.amdhsa_exception_fp_ieee_underflow 0
		.amdhsa_exception_fp_ieee_inexact 0
		.amdhsa_exception_int_div_zero 0
	.end_amdhsa_kernel
	.section	.text._ZL24rocblas_symm_hemm_kernelILb0ELb1ELi32EfPKPKfPKPfEvbiiT2_T3_lllS8_lllT4_llli,"axG",@progbits,_ZL24rocblas_symm_hemm_kernelILb0ELb1ELi32EfPKPKfPKPfEvbiiT2_T3_lllS8_lllT4_llli,comdat
.Lfunc_end37:
	.size	_ZL24rocblas_symm_hemm_kernelILb0ELb1ELi32EfPKPKfPKPfEvbiiT2_T3_lllS8_lllT4_llli, .Lfunc_end37-_ZL24rocblas_symm_hemm_kernelILb0ELb1ELi32EfPKPKfPKPfEvbiiT2_T3_lllS8_lllT4_llli
                                        ; -- End function
	.section	.AMDGPU.csdata,"",@progbits
; Kernel info:
; codeLenInByte = 1332
; NumSgprs: 32
; NumVgprs: 32
; ScratchSize: 0
; MemoryBound: 0
; FloatMode: 240
; IeeeMode: 1
; LDSByteSize: 8192 bytes/workgroup (compile time only)
; SGPRBlocks: 3
; VGPRBlocks: 3
; NumSGPRsForWavesPerEU: 32
; NumVGPRsForWavesPerEU: 32
; Occupancy: 16
; WaveLimiterHint : 1
; COMPUTE_PGM_RSRC2:SCRATCH_EN: 0
; COMPUTE_PGM_RSRC2:USER_SGPR: 13
; COMPUTE_PGM_RSRC2:TRAP_HANDLER: 0
; COMPUTE_PGM_RSRC2:TGID_X_EN: 1
; COMPUTE_PGM_RSRC2:TGID_Y_EN: 1
; COMPUTE_PGM_RSRC2:TGID_Z_EN: 1
; COMPUTE_PGM_RSRC2:TIDIG_COMP_CNT: 1
	.section	.text._ZL25rocblas_symm_scale_kernelILi128ELi8EPKdPKPdEviiT1_T2_llli,"axG",@progbits,_ZL25rocblas_symm_scale_kernelILi128ELi8EPKdPKPdEviiT1_T2_llli,comdat
	.globl	_ZL25rocblas_symm_scale_kernelILi128ELi8EPKdPKPdEviiT1_T2_llli ; -- Begin function _ZL25rocblas_symm_scale_kernelILi128ELi8EPKdPKPdEviiT1_T2_llli
	.p2align	8
	.type	_ZL25rocblas_symm_scale_kernelILi128ELi8EPKdPKPdEviiT1_T2_llli,@function
_ZL25rocblas_symm_scale_kernelILi128ELi8EPKdPKPdEviiT1_T2_llli: ; @_ZL25rocblas_symm_scale_kernelILi128ELi8EPKdPKPdEviiT1_T2_llli
; %bb.0:
	s_load_b256 s[4:11], s[0:1], 0x8
	s_waitcnt lgkmcnt(0)
	s_load_b64 s[4:5], s[4:5], 0x0
	s_waitcnt lgkmcnt(0)
	v_cmp_eq_f64_e64 s2, s[4:5], 1.0
	s_delay_alu instid0(VALU_DEP_1)
	s_and_b32 vcc_lo, exec_lo, s2
	s_cbranch_vccnz .LBB38_7
; %bb.1:
	s_load_b64 s[2:3], s[0:1], 0x0
	v_bfe_u32 v2, v0, 10, 10
	v_and_b32_e32 v3, 0x3ff, v0
	v_mov_b32_e32 v1, 0
	s_mov_b32 s12, s15
	s_delay_alu instid0(VALU_DEP_3) | instskip(NEXT) | instid1(VALU_DEP_3)
	v_lshl_add_u32 v0, s14, 3, v2
	v_lshl_add_u32 v2, s13, 7, v3
	s_waitcnt lgkmcnt(0)
	s_ashr_i32 s15, s3, 31
	s_mov_b32 s14, s3
	s_delay_alu instid0(VALU_DEP_1) | instskip(SKIP_1) | instid1(VALU_DEP_2)
	v_cmp_gt_u32_e64 s2, s2, v2
	v_cmp_gt_i64_e32 vcc_lo, s[14:15], v[0:1]
	s_and_b32 s2, s2, vcc_lo
	s_delay_alu instid0(SALU_CYCLE_1)
	s_and_saveexec_b32 s3, s2
	s_cbranch_execz .LBB38_7
; %bb.2:
	v_mad_u64_u32 v[4:5], null, s10, v0, 0
	s_load_b32 s16, s[0:1], 0x3c
	s_mov_b32 s13, 0
	s_delay_alu instid0(SALU_CYCLE_1) | instskip(NEXT) | instid1(SALU_CYCLE_1)
	s_lshl_b64 s[0:1], s[12:13], 3
	s_add_u32 s0, s6, s0
	s_delay_alu instid0(VALU_DEP_1) | instskip(SKIP_3) | instid1(VALU_DEP_1)
	v_mov_b32_e32 v3, v5
	s_addc_u32 s1, s7, s1
	s_lshl_b64 s[6:7], s[8:9], 3
	s_load_b64 s[2:3], s[0:1], 0x0
	v_mad_u64_u32 v[5:6], null, s11, v0, v[3:4]
	v_mov_b32_e32 v3, v1
	s_delay_alu instid0(VALU_DEP_1) | instskip(NEXT) | instid1(VALU_DEP_3)
	v_lshlrev_b64 v[2:3], 3, v[2:3]
	v_lshlrev_b64 v[4:5], 3, v[4:5]
	s_waitcnt lgkmcnt(0)
	s_lshl_b32 s1, s16, 3
	s_delay_alu instid0(SALU_CYCLE_1) | instskip(SKIP_1) | instid1(VALU_DEP_1)
	s_mul_i32 s0, s11, s1
	s_mul_i32 s8, s10, s1
	v_add_co_u32 v4, vcc_lo, v4, s6
	s_mul_hi_u32 s6, s10, s1
	v_add_co_ci_u32_e32 v5, vcc_lo, s7, v5, vcc_lo
	s_add_i32 s9, s6, s0
	v_cmp_neq_f64_e64 s6, s[4:5], 0
	v_add_co_u32 v2, vcc_lo, v4, v2
	s_delay_alu instid0(VALU_DEP_3) | instskip(NEXT) | instid1(VALU_DEP_2)
	v_add_co_ci_u32_e32 v3, vcc_lo, v5, v3, vcc_lo
	v_add_co_u32 v2, vcc_lo, s2, v2
	s_delay_alu instid0(VALU_DEP_2)
	v_add_co_ci_u32_e32 v3, vcc_lo, s3, v3, vcc_lo
	s_lshl_b64 s[2:3], s[8:9], 3
	s_branch .LBB38_5
	.p2align	6
.LBB38_3:                               ;   in Loop: Header=BB38_5 Depth=1
	global_load_b64 v[4:5], v[2:3], off
	s_waitcnt vmcnt(0)
	v_mul_f64 v[4:5], s[4:5], v[4:5]
.LBB38_4:                               ;   in Loop: Header=BB38_5 Depth=1
	v_add_co_u32 v0, vcc_lo, v0, s1
	v_add_co_ci_u32_e32 v1, vcc_lo, 0, v1, vcc_lo
	global_store_b64 v[2:3], v[4:5], off
	v_add_co_u32 v2, s0, v2, s2
	v_cmp_le_i64_e32 vcc_lo, s[14:15], v[0:1]
	v_add_co_ci_u32_e64 v3, s0, s3, v3, s0
	s_or_b32 s13, vcc_lo, s13
	s_delay_alu instid0(SALU_CYCLE_1)
	s_and_not1_b32 exec_lo, exec_lo, s13
	s_cbranch_execz .LBB38_7
.LBB38_5:                               ; =>This Inner Loop Header: Depth=1
	s_and_not1_b32 vcc_lo, exec_lo, s6
	s_cbranch_vccz .LBB38_3
; %bb.6:                                ;   in Loop: Header=BB38_5 Depth=1
	v_mov_b32_e32 v4, 0
	v_mov_b32_e32 v5, 0
	s_branch .LBB38_4
.LBB38_7:
	s_nop 0
	s_sendmsg sendmsg(MSG_DEALLOC_VGPRS)
	s_endpgm
	.section	.rodata,"a",@progbits
	.p2align	6, 0x0
	.amdhsa_kernel _ZL25rocblas_symm_scale_kernelILi128ELi8EPKdPKPdEviiT1_T2_llli
		.amdhsa_group_segment_fixed_size 0
		.amdhsa_private_segment_fixed_size 0
		.amdhsa_kernarg_size 312
		.amdhsa_user_sgpr_count 13
		.amdhsa_user_sgpr_dispatch_ptr 0
		.amdhsa_user_sgpr_queue_ptr 0
		.amdhsa_user_sgpr_kernarg_segment_ptr 1
		.amdhsa_user_sgpr_dispatch_id 0
		.amdhsa_user_sgpr_private_segment_size 0
		.amdhsa_wavefront_size32 1
		.amdhsa_uses_dynamic_stack 0
		.amdhsa_enable_private_segment 0
		.amdhsa_system_sgpr_workgroup_id_x 1
		.amdhsa_system_sgpr_workgroup_id_y 1
		.amdhsa_system_sgpr_workgroup_id_z 1
		.amdhsa_system_sgpr_workgroup_info 0
		.amdhsa_system_vgpr_workitem_id 1
		.amdhsa_next_free_vgpr 7
		.amdhsa_next_free_sgpr 17
		.amdhsa_reserve_vcc 1
		.amdhsa_float_round_mode_32 0
		.amdhsa_float_round_mode_16_64 0
		.amdhsa_float_denorm_mode_32 3
		.amdhsa_float_denorm_mode_16_64 3
		.amdhsa_dx10_clamp 1
		.amdhsa_ieee_mode 1
		.amdhsa_fp16_overflow 0
		.amdhsa_workgroup_processor_mode 1
		.amdhsa_memory_ordered 1
		.amdhsa_forward_progress 0
		.amdhsa_shared_vgpr_count 0
		.amdhsa_exception_fp_ieee_invalid_op 0
		.amdhsa_exception_fp_denorm_src 0
		.amdhsa_exception_fp_ieee_div_zero 0
		.amdhsa_exception_fp_ieee_overflow 0
		.amdhsa_exception_fp_ieee_underflow 0
		.amdhsa_exception_fp_ieee_inexact 0
		.amdhsa_exception_int_div_zero 0
	.end_amdhsa_kernel
	.section	.text._ZL25rocblas_symm_scale_kernelILi128ELi8EPKdPKPdEviiT1_T2_llli,"axG",@progbits,_ZL25rocblas_symm_scale_kernelILi128ELi8EPKdPKPdEviiT1_T2_llli,comdat
.Lfunc_end38:
	.size	_ZL25rocblas_symm_scale_kernelILi128ELi8EPKdPKPdEviiT1_T2_llli, .Lfunc_end38-_ZL25rocblas_symm_scale_kernelILi128ELi8EPKdPKPdEviiT1_T2_llli
                                        ; -- End function
	.section	.AMDGPU.csdata,"",@progbits
; Kernel info:
; codeLenInByte = 424
; NumSgprs: 19
; NumVgprs: 7
; ScratchSize: 0
; MemoryBound: 1
; FloatMode: 240
; IeeeMode: 1
; LDSByteSize: 0 bytes/workgroup (compile time only)
; SGPRBlocks: 2
; VGPRBlocks: 0
; NumSGPRsForWavesPerEU: 19
; NumVGPRsForWavesPerEU: 7
; Occupancy: 16
; WaveLimiterHint : 0
; COMPUTE_PGM_RSRC2:SCRATCH_EN: 0
; COMPUTE_PGM_RSRC2:USER_SGPR: 13
; COMPUTE_PGM_RSRC2:TRAP_HANDLER: 0
; COMPUTE_PGM_RSRC2:TGID_X_EN: 1
; COMPUTE_PGM_RSRC2:TGID_Y_EN: 1
; COMPUTE_PGM_RSRC2:TGID_Z_EN: 1
; COMPUTE_PGM_RSRC2:TIDIG_COMP_CNT: 1
	.section	.text._ZL24rocblas_symm_hemm_kernelILb0ELb0ELi32EPKdPKS1_PKPdEvbiiT2_T3_lllS8_lllT4_llli,"axG",@progbits,_ZL24rocblas_symm_hemm_kernelILb0ELb0ELi32EPKdPKS1_PKPdEvbiiT2_T3_lllS8_lllT4_llli,comdat
	.globl	_ZL24rocblas_symm_hemm_kernelILb0ELb0ELi32EPKdPKS1_PKPdEvbiiT2_T3_lllS8_lllT4_llli ; -- Begin function _ZL24rocblas_symm_hemm_kernelILb0ELb0ELi32EPKdPKS1_PKPdEvbiiT2_T3_lllS8_lllT4_llli
	.p2align	8
	.type	_ZL24rocblas_symm_hemm_kernelILb0ELb0ELi32EPKdPKS1_PKPdEvbiiT2_T3_lllS8_lllT4_llli,@function
_ZL24rocblas_symm_hemm_kernelILb0ELb0ELi32EPKdPKS1_PKPdEvbiiT2_T3_lllS8_lllT4_llli: ; @_ZL24rocblas_symm_hemm_kernelILb0ELb0ELi32EPKdPKS1_PKPdEvbiiT2_T3_lllS8_lllT4_llli
; %bb.0:
	s_load_b256 s[4:11], s[0:1], 0x10
	s_waitcnt lgkmcnt(0)
	s_load_b64 s[20:21], s[4:5], 0x0
	s_waitcnt lgkmcnt(0)
	v_cmp_eq_f64_e64 s3, s[20:21], 0
	s_delay_alu instid0(VALU_DEP_1)
	s_and_b32 vcc_lo, exec_lo, s3
	s_cbranch_vccnz .LBB39_13
; %bb.1:
	s_load_b128 s[16:19], s[0:1], 0x0
	s_waitcnt lgkmcnt(0)
	s_add_i32 s3, s18, -1
	s_delay_alu instid0(SALU_CYCLE_1) | instskip(NEXT) | instid1(SALU_CYCLE_1)
	s_ashr_i32 s4, s3, 31
	s_lshr_b32 s4, s4, 27
	s_delay_alu instid0(SALU_CYCLE_1) | instskip(NEXT) | instid1(SALU_CYCLE_1)
	s_add_i32 s3, s3, s4
	s_ashr_i32 s12, s3, 5
	s_delay_alu instid0(SALU_CYCLE_1)
	s_cmp_gt_i32 s14, s12
	s_cbranch_scc1 .LBB39_13
; %bb.2:
	s_mov_b32 s2, s15
	s_mov_b32 s3, 0
	v_and_b32_e32 v9, 0x3ff, v0
	s_lshl_b64 s[28:29], s[2:3], 3
	v_bfe_u32 v8, v0, 10, 10
	s_add_u32 s2, s6, s28
	s_addc_u32 s3, s7, s29
	s_load_b64 s[4:5], s[2:3], 0x0
	s_load_b128 s[24:27], s[0:1], 0x38
	s_lshl_b64 s[6:7], s[8:9], 3
	v_lshl_add_u32 v0, s13, 5, v9
	s_load_b64 s[8:9], s[0:1], 0x48
	v_lshlrev_b32_e32 v2, 3, v8
	v_lshlrev_b32_e32 v10, 8, v9
	s_delay_alu instid0(VALU_DEP_3) | instskip(NEXT) | instid1(VALU_DEP_3)
	v_ashrrev_i32_e32 v1, 31, v0
	v_or_b32_e32 v11, 0x2000, v2
	s_delay_alu instid0(VALU_DEP_3) | instskip(NEXT) | instid1(VALU_DEP_3)
	v_add_nc_u32_e32 v12, v10, v2
	v_lshlrev_b64 v[1:2], 3, v[0:1]
	s_delay_alu instid0(VALU_DEP_3)
	v_add_nc_u32_e32 v13, v11, v10
	v_add_nc_u32_e32 v14, 0x800, v11
	;; [unrolled: 1-line block ×4, first 2 shown]
	s_waitcnt lgkmcnt(0)
	s_add_u32 s3, s4, s6
	s_addc_u32 s15, s5, s7
	s_add_u32 s4, s24, s28
	s_addc_u32 s5, s25, s29
	s_load_b64 s[24:25], s[4:5], 0x0
	s_clause 0x1
	s_load_b128 s[4:7], s[0:1], 0x58
	s_load_b64 s[22:23], s[0:1], 0x68
	s_lshl_b64 s[26:27], s[26:27], 3
	s_waitcnt lgkmcnt(0)
	s_add_u32 s19, s24, s26
	s_addc_u32 s24, s25, s27
	s_add_u32 s4, s4, s28
	s_addc_u32 s5, s5, s29
	s_bitcmp1_b32 s16, 0
	s_load_b64 s[26:27], s[4:5], 0x0
	s_load_b32 s4, s[0:1], 0x84
	s_cselect_b32 s1, -1, 0
	s_lshl_b64 s[6:7], s[6:7], 3
	v_cmp_gt_i32_e64 s0, s17, v0
	s_waitcnt lgkmcnt(0)
	s_add_u32 s2, s26, s6
	s_addc_u32 s5, s27, s7
	v_add_co_u32 v16, vcc_lo, s2, v1
	v_add_co_ci_u32_e32 v17, vcc_lo, s5, v2, vcc_lo
	s_cmp_gt_i32 s17, 0
	s_cselect_b32 s5, -1, 0
	s_branch .LBB39_4
.LBB39_3:                               ;   in Loop: Header=BB39_4 Depth=1
	s_add_i32 s14, s14, s4
	s_delay_alu instid0(SALU_CYCLE_1)
	s_cmp_gt_i32 s14, s12
	s_cbranch_scc1 .LBB39_13
.LBB39_4:                               ; =>This Loop Header: Depth=1
                                        ;     Child Loop BB39_7 Depth 2
	s_and_not1_b32 vcc_lo, exec_lo, s5
	s_cbranch_vccnz .LBB39_3
; %bb.5:                                ;   in Loop: Header=BB39_4 Depth=1
	v_lshl_add_u32 v5, s14, 5, v8
	s_mov_b32 s7, 0
	s_delay_alu instid0(VALU_DEP_1) | instskip(SKIP_3) | instid1(VALU_DEP_4)
	v_ashrrev_i32_e32 v6, 31, v5
	v_mul_lo_u32 v7, v5, s9
	v_mad_u64_u32 v[1:2], null, v5, s8, 0
	v_mul_lo_u32 v20, v5, s23
	v_mul_lo_u32 v19, v6, s8
	v_mad_u64_u32 v[3:4], null, v5, s22, 0
	v_mul_lo_u32 v6, v6, s22
	v_cmp_gt_i32_e32 vcc_lo, s18, v5
	s_delay_alu instid0(VALU_DEP_4) | instskip(SKIP_1) | instid1(VALU_DEP_3)
	v_add3_u32 v2, v2, v7, v19
	s_and_b32 s6, s0, vcc_lo
	v_add3_u32 v4, v4, v20, v6
	s_delay_alu instid0(VALU_DEP_2) | instskip(NEXT) | instid1(VALU_DEP_2)
	v_lshlrev_b64 v[1:2], 3, v[1:2]
	v_lshlrev_b64 v[3:4], 3, v[3:4]
	s_delay_alu instid0(VALU_DEP_2) | instskip(NEXT) | instid1(VALU_DEP_1)
	v_add_co_u32 v19, s2, s19, v1
	v_add_co_ci_u32_e64 v20, s2, s24, v2, s2
	s_delay_alu instid0(VALU_DEP_3) | instskip(NEXT) | instid1(VALU_DEP_1)
	v_add_co_u32 v1, s2, v16, v3
	v_add_co_ci_u32_e64 v2, s2, v17, v4, s2
	s_branch .LBB39_7
.LBB39_6:                               ;   in Loop: Header=BB39_7 Depth=2
	s_or_b32 exec_lo, exec_lo, s2
	s_add_i32 s7, s7, 32
	s_waitcnt_vscnt null, 0x0
	s_cmp_ge_i32 s7, s17
	s_barrier
	buffer_gl0_inv
	s_cbranch_scc1 .LBB39_3
.LBB39_7:                               ;   Parent Loop BB39_4 Depth=1
                                        ; =>  This Inner Loop Header: Depth=2
	v_add_nc_u32_e32 v3, s7, v8
	s_delay_alu instid0(VALU_DEP_1) | instskip(SKIP_1) | instid1(VALU_DEP_1)
	v_cndmask_b32_e64 v4, v3, v0, s1
	v_cndmask_b32_e64 v5, v0, v3, s1
	v_cmp_gt_i32_e64 s2, v4, v5
	s_delay_alu instid0(VALU_DEP_1) | instskip(SKIP_3) | instid1(VALU_DEP_3)
	v_cndmask_b32_e64 v5, v0, v3, s2
	v_cndmask_b32_e64 v21, v3, v0, s2
	v_mov_b32_e32 v3, 0
	v_mov_b32_e32 v4, 0
	v_max_i32_e32 v6, v5, v21
	s_delay_alu instid0(VALU_DEP_1) | instskip(NEXT) | instid1(VALU_DEP_3)
	v_cmp_gt_i32_e64 s2, s17, v6
	v_dual_mov_b32 v7, v4 :: v_dual_mov_b32 v6, v3
	s_delay_alu instid0(VALU_DEP_2)
	s_and_saveexec_b32 s13, s2
	s_cbranch_execz .LBB39_9
; %bb.8:                                ;   in Loop: Header=BB39_7 Depth=2
	v_ashrrev_i32_e32 v6, 31, v21
	v_mul_lo_u32 v7, v21, s11
	v_mad_u64_u32 v[22:23], null, v21, s10, 0
	s_delay_alu instid0(VALU_DEP_3) | instskip(NEXT) | instid1(VALU_DEP_1)
	v_mul_lo_u32 v6, v6, s10
	v_add3_u32 v23, v23, v7, v6
	v_ashrrev_i32_e32 v6, 31, v5
	s_delay_alu instid0(VALU_DEP_2) | instskip(NEXT) | instid1(VALU_DEP_2)
	v_lshlrev_b64 v[21:22], 3, v[22:23]
	v_lshlrev_b64 v[5:6], 3, v[5:6]
	s_delay_alu instid0(VALU_DEP_2) | instskip(NEXT) | instid1(VALU_DEP_1)
	v_add_co_u32 v7, s2, s3, v21
	v_add_co_ci_u32_e64 v21, s2, s15, v22, s2
	s_delay_alu instid0(VALU_DEP_2) | instskip(NEXT) | instid1(VALU_DEP_1)
	v_add_co_u32 v5, s2, v7, v5
	v_add_co_ci_u32_e64 v6, s2, v21, v6, s2
	global_load_b64 v[6:7], v[5:6], off
.LBB39_9:                               ;   in Loop: Header=BB39_7 Depth=2
	s_or_b32 exec_lo, exec_lo, s13
	v_add_nc_u32_e32 v5, s7, v9
	s_waitcnt vmcnt(0)
	ds_store_b64 v12, v[6:7]
	v_cmp_gt_i32_e64 s2, s17, v5
	s_delay_alu instid0(VALU_DEP_1) | instskip(NEXT) | instid1(SALU_CYCLE_1)
	s_and_b32 s2, s2, vcc_lo
	s_and_saveexec_b32 s13, s2
	s_cbranch_execz .LBB39_11
; %bb.10:                               ;   in Loop: Header=BB39_7 Depth=2
	v_ashrrev_i32_e32 v6, 31, v5
	s_delay_alu instid0(VALU_DEP_1) | instskip(NEXT) | instid1(VALU_DEP_1)
	v_lshlrev_b64 v[3:4], 3, v[5:6]
	v_add_co_u32 v3, s2, v19, v3
	s_delay_alu instid0(VALU_DEP_1)
	v_add_co_ci_u32_e64 v4, s2, v20, v4, s2
	global_load_b64 v[3:4], v[3:4], off
.LBB39_11:                              ;   in Loop: Header=BB39_7 Depth=2
	s_or_b32 exec_lo, exec_lo, s13
	s_waitcnt vmcnt(0)
	ds_store_b64 v13, v[3:4]
	s_waitcnt lgkmcnt(0)
	s_barrier
	buffer_gl0_inv
	s_and_saveexec_b32 s2, s6
	s_cbranch_execz .LBB39_6
; %bb.12:                               ;   in Loop: Header=BB39_7 Depth=2
	ds_load_2addr_b64 v[3:6], v11 offset1:32
	ds_load_b128 v[21:24], v10
	ds_load_b128 v[25:28], v10 offset:16
	s_waitcnt lgkmcnt(1)
	v_fma_f64 v[3:4], v[21:22], v[3:4], 0
	s_delay_alu instid0(VALU_DEP_1) | instskip(SKIP_3) | instid1(VALU_DEP_1)
	v_fma_f64 v[21:22], v[23:24], v[5:6], v[3:4]
	ds_load_2addr_b64 v[3:6], v11 offset0:64 offset1:96
	s_waitcnt lgkmcnt(0)
	v_fma_f64 v[3:4], v[25:26], v[3:4], v[21:22]
	v_fma_f64 v[29:30], v[27:28], v[5:6], v[3:4]
	ds_load_2addr_b64 v[3:6], v11 offset0:128 offset1:160
	ds_load_b128 v[21:24], v10 offset:32
	ds_load_b128 v[25:28], v10 offset:48
	s_waitcnt lgkmcnt(1)
	v_fma_f64 v[3:4], v[21:22], v[3:4], v[29:30]
	s_delay_alu instid0(VALU_DEP_1) | instskip(SKIP_3) | instid1(VALU_DEP_1)
	v_fma_f64 v[21:22], v[23:24], v[5:6], v[3:4]
	ds_load_2addr_b64 v[3:6], v11 offset0:192 offset1:224
	s_waitcnt lgkmcnt(0)
	v_fma_f64 v[3:4], v[25:26], v[3:4], v[21:22]
	v_fma_f64 v[29:30], v[27:28], v[5:6], v[3:4]
	ds_load_2addr_b64 v[3:6], v14 offset1:32
	ds_load_b128 v[21:24], v10 offset:64
	ds_load_b128 v[25:28], v10 offset:80
	s_waitcnt lgkmcnt(1)
	v_fma_f64 v[3:4], v[21:22], v[3:4], v[29:30]
	s_delay_alu instid0(VALU_DEP_1) | instskip(SKIP_3) | instid1(VALU_DEP_1)
	v_fma_f64 v[21:22], v[23:24], v[5:6], v[3:4]
	ds_load_2addr_b64 v[3:6], v14 offset0:64 offset1:96
	s_waitcnt lgkmcnt(0)
	v_fma_f64 v[3:4], v[25:26], v[3:4], v[21:22]
	v_fma_f64 v[29:30], v[27:28], v[5:6], v[3:4]
	ds_load_2addr_b64 v[3:6], v14 offset0:128 offset1:160
	ds_load_b128 v[21:24], v10 offset:96
	ds_load_b128 v[25:28], v10 offset:112
	s_waitcnt lgkmcnt(1)
	v_fma_f64 v[3:4], v[21:22], v[3:4], v[29:30]
	s_delay_alu instid0(VALU_DEP_1) | instskip(SKIP_3) | instid1(VALU_DEP_1)
	v_fma_f64 v[21:22], v[23:24], v[5:6], v[3:4]
	ds_load_2addr_b64 v[3:6], v14 offset0:192 offset1:224
	s_waitcnt lgkmcnt(0)
	v_fma_f64 v[3:4], v[25:26], v[3:4], v[21:22]
	v_fma_f64 v[29:30], v[27:28], v[5:6], v[3:4]
	ds_load_2addr_b64 v[3:6], v15 offset1:32
	ds_load_b128 v[21:24], v10 offset:128
	ds_load_b128 v[25:28], v10 offset:144
	s_waitcnt lgkmcnt(1)
	v_fma_f64 v[3:4], v[21:22], v[3:4], v[29:30]
	s_delay_alu instid0(VALU_DEP_1) | instskip(SKIP_3) | instid1(VALU_DEP_1)
	v_fma_f64 v[21:22], v[23:24], v[5:6], v[3:4]
	ds_load_2addr_b64 v[3:6], v15 offset0:64 offset1:96
	s_waitcnt lgkmcnt(0)
	v_fma_f64 v[3:4], v[25:26], v[3:4], v[21:22]
	v_fma_f64 v[29:30], v[27:28], v[5:6], v[3:4]
	ds_load_2addr_b64 v[3:6], v15 offset0:128 offset1:160
	ds_load_b128 v[21:24], v10 offset:160
	ds_load_b128 v[25:28], v10 offset:176
	s_waitcnt lgkmcnt(1)
	v_fma_f64 v[3:4], v[21:22], v[3:4], v[29:30]
	s_delay_alu instid0(VALU_DEP_1) | instskip(SKIP_3) | instid1(VALU_DEP_1)
	v_fma_f64 v[21:22], v[23:24], v[5:6], v[3:4]
	ds_load_2addr_b64 v[3:6], v15 offset0:192 offset1:224
	s_waitcnt lgkmcnt(0)
	v_fma_f64 v[3:4], v[25:26], v[3:4], v[21:22]
	v_fma_f64 v[29:30], v[27:28], v[5:6], v[3:4]
	ds_load_2addr_b64 v[3:6], v18 offset1:32
	ds_load_b128 v[21:24], v10 offset:192
	global_load_b64 v[31:32], v[1:2], off
	ds_load_b128 v[25:28], v10 offset:208
	s_waitcnt lgkmcnt(1)
	v_fma_f64 v[3:4], v[21:22], v[3:4], v[29:30]
	s_delay_alu instid0(VALU_DEP_1) | instskip(SKIP_3) | instid1(VALU_DEP_1)
	v_fma_f64 v[21:22], v[23:24], v[5:6], v[3:4]
	ds_load_2addr_b64 v[3:6], v18 offset0:64 offset1:96
	s_waitcnt lgkmcnt(0)
	v_fma_f64 v[3:4], v[25:26], v[3:4], v[21:22]
	v_fma_f64 v[29:30], v[27:28], v[5:6], v[3:4]
	ds_load_2addr_b64 v[3:6], v18 offset0:128 offset1:160
	ds_load_b128 v[21:24], v10 offset:224
	ds_load_b128 v[25:28], v10 offset:240
	s_waitcnt lgkmcnt(1)
	v_fma_f64 v[3:4], v[21:22], v[3:4], v[29:30]
	s_delay_alu instid0(VALU_DEP_1) | instskip(SKIP_3) | instid1(VALU_DEP_1)
	v_fma_f64 v[21:22], v[23:24], v[5:6], v[3:4]
	ds_load_2addr_b64 v[3:6], v18 offset0:192 offset1:224
	s_waitcnt lgkmcnt(0)
	v_fma_f64 v[3:4], v[25:26], v[3:4], v[21:22]
	v_fma_f64 v[3:4], v[27:28], v[5:6], v[3:4]
	s_waitcnt vmcnt(0)
	s_delay_alu instid0(VALU_DEP_1)
	v_fma_f64 v[3:4], s[20:21], v[3:4], v[31:32]
	global_store_b64 v[1:2], v[3:4], off
	s_branch .LBB39_6
.LBB39_13:
	s_endpgm
	.section	.rodata,"a",@progbits
	.p2align	6, 0x0
	.amdhsa_kernel _ZL24rocblas_symm_hemm_kernelILb0ELb0ELi32EPKdPKS1_PKPdEvbiiT2_T3_lllS8_lllT4_llli
		.amdhsa_group_segment_fixed_size 16384
		.amdhsa_private_segment_fixed_size 0
		.amdhsa_kernarg_size 384
		.amdhsa_user_sgpr_count 13
		.amdhsa_user_sgpr_dispatch_ptr 0
		.amdhsa_user_sgpr_queue_ptr 0
		.amdhsa_user_sgpr_kernarg_segment_ptr 1
		.amdhsa_user_sgpr_dispatch_id 0
		.amdhsa_user_sgpr_private_segment_size 0
		.amdhsa_wavefront_size32 1
		.amdhsa_uses_dynamic_stack 0
		.amdhsa_enable_private_segment 0
		.amdhsa_system_sgpr_workgroup_id_x 1
		.amdhsa_system_sgpr_workgroup_id_y 1
		.amdhsa_system_sgpr_workgroup_id_z 1
		.amdhsa_system_sgpr_workgroup_info 0
		.amdhsa_system_vgpr_workitem_id 1
		.amdhsa_next_free_vgpr 33
		.amdhsa_next_free_sgpr 30
		.amdhsa_reserve_vcc 1
		.amdhsa_float_round_mode_32 0
		.amdhsa_float_round_mode_16_64 0
		.amdhsa_float_denorm_mode_32 3
		.amdhsa_float_denorm_mode_16_64 3
		.amdhsa_dx10_clamp 1
		.amdhsa_ieee_mode 1
		.amdhsa_fp16_overflow 0
		.amdhsa_workgroup_processor_mode 1
		.amdhsa_memory_ordered 1
		.amdhsa_forward_progress 0
		.amdhsa_shared_vgpr_count 0
		.amdhsa_exception_fp_ieee_invalid_op 0
		.amdhsa_exception_fp_denorm_src 0
		.amdhsa_exception_fp_ieee_div_zero 0
		.amdhsa_exception_fp_ieee_overflow 0
		.amdhsa_exception_fp_ieee_underflow 0
		.amdhsa_exception_fp_ieee_inexact 0
		.amdhsa_exception_int_div_zero 0
	.end_amdhsa_kernel
	.section	.text._ZL24rocblas_symm_hemm_kernelILb0ELb0ELi32EPKdPKS1_PKPdEvbiiT2_T3_lllS8_lllT4_llli,"axG",@progbits,_ZL24rocblas_symm_hemm_kernelILb0ELb0ELi32EPKdPKS1_PKPdEvbiiT2_T3_lllS8_lllT4_llli,comdat
.Lfunc_end39:
	.size	_ZL24rocblas_symm_hemm_kernelILb0ELb0ELi32EPKdPKS1_PKPdEvbiiT2_T3_lllS8_lllT4_llli, .Lfunc_end39-_ZL24rocblas_symm_hemm_kernelILb0ELb0ELi32EPKdPKS1_PKPdEvbiiT2_T3_lllS8_lllT4_llli
                                        ; -- End function
	.section	.AMDGPU.csdata,"",@progbits
; Kernel info:
; codeLenInByte = 1584
; NumSgprs: 32
; NumVgprs: 33
; ScratchSize: 0
; MemoryBound: 0
; FloatMode: 240
; IeeeMode: 1
; LDSByteSize: 16384 bytes/workgroup (compile time only)
; SGPRBlocks: 3
; VGPRBlocks: 4
; NumSGPRsForWavesPerEU: 32
; NumVGPRsForWavesPerEU: 33
; Occupancy: 16
; WaveLimiterHint : 1
; COMPUTE_PGM_RSRC2:SCRATCH_EN: 0
; COMPUTE_PGM_RSRC2:USER_SGPR: 13
; COMPUTE_PGM_RSRC2:TRAP_HANDLER: 0
; COMPUTE_PGM_RSRC2:TGID_X_EN: 1
; COMPUTE_PGM_RSRC2:TGID_Y_EN: 1
; COMPUTE_PGM_RSRC2:TGID_Z_EN: 1
; COMPUTE_PGM_RSRC2:TIDIG_COMP_CNT: 1
	.section	.text._ZL24rocblas_symm_hemm_kernelILb0ELb1ELi32EPKdPKS1_PKPdEvbiiT2_T3_lllS8_lllT4_llli,"axG",@progbits,_ZL24rocblas_symm_hemm_kernelILb0ELb1ELi32EPKdPKS1_PKPdEvbiiT2_T3_lllS8_lllT4_llli,comdat
	.globl	_ZL24rocblas_symm_hemm_kernelILb0ELb1ELi32EPKdPKS1_PKPdEvbiiT2_T3_lllS8_lllT4_llli ; -- Begin function _ZL24rocblas_symm_hemm_kernelILb0ELb1ELi32EPKdPKS1_PKPdEvbiiT2_T3_lllS8_lllT4_llli
	.p2align	8
	.type	_ZL24rocblas_symm_hemm_kernelILb0ELb1ELi32EPKdPKS1_PKPdEvbiiT2_T3_lllS8_lllT4_llli,@function
_ZL24rocblas_symm_hemm_kernelILb0ELb1ELi32EPKdPKS1_PKPdEvbiiT2_T3_lllS8_lllT4_llli: ; @_ZL24rocblas_symm_hemm_kernelILb0ELb1ELi32EPKdPKS1_PKPdEvbiiT2_T3_lllS8_lllT4_llli
; %bb.0:
	s_load_b256 s[4:11], s[0:1], 0x10
	s_waitcnt lgkmcnt(0)
	s_load_b64 s[24:25], s[4:5], 0x0
	s_waitcnt lgkmcnt(0)
	v_cmp_eq_f64_e64 s3, s[24:25], 0
	s_delay_alu instid0(VALU_DEP_1)
	s_and_b32 vcc_lo, exec_lo, s3
	s_cbranch_vccnz .LBB40_13
; %bb.1:
	s_load_b128 s[16:19], s[0:1], 0x0
	s_waitcnt lgkmcnt(0)
	s_add_i32 s3, s18, -1
	s_delay_alu instid0(SALU_CYCLE_1) | instskip(NEXT) | instid1(SALU_CYCLE_1)
	s_ashr_i32 s4, s3, 31
	s_lshr_b32 s4, s4, 27
	s_delay_alu instid0(SALU_CYCLE_1) | instskip(NEXT) | instid1(SALU_CYCLE_1)
	s_add_i32 s3, s3, s4
	s_ashr_i32 s12, s3, 5
	s_delay_alu instid0(SALU_CYCLE_1)
	s_cmp_gt_i32 s14, s12
	s_cbranch_scc1 .LBB40_13
; %bb.2:
	s_mov_b32 s2, s15
	s_mov_b32 s3, 0
	v_and_b32_e32 v7, 0x3ff, v0
	s_lshl_b64 s[30:31], s[2:3], 3
	v_bfe_u32 v8, v0, 10, 10
	s_add_u32 s2, s6, s30
	s_addc_u32 s3, s7, s31
	s_load_b64 s[34:35], s[2:3], 0x0
	s_clause 0x3
	s_load_b128 s[4:7], s[0:1], 0x38
	s_load_b128 s[20:23], s[0:1], 0x58
	s_load_b64 s[26:27], s[0:1], 0x48
	s_load_b64 s[28:29], s[0:1], 0x68
	s_lshl_b64 s[8:9], s[8:9], 3
	v_lshl_add_u32 v0, s13, 5, v7
	v_lshlrev_b32_e32 v2, 3, v8
	v_lshlrev_b32_e32 v9, 8, v7
	s_delay_alu instid0(VALU_DEP_3) | instskip(NEXT) | instid1(VALU_DEP_3)
	v_ashrrev_i32_e32 v1, 31, v0
	v_or_b32_e32 v10, 0x2000, v2
	s_delay_alu instid0(VALU_DEP_3) | instskip(NEXT) | instid1(VALU_DEP_2)
	v_add_nc_u32_e32 v11, v9, v2
	v_add_nc_u32_e32 v12, v10, v9
	;; [unrolled: 1-line block ×4, first 2 shown]
	s_waitcnt lgkmcnt(0)
	s_add_u32 s3, s34, s8
	s_addc_u32 s8, s35, s9
	s_add_u32 s4, s4, s30
	s_addc_u32 s5, s5, s31
	;; [unrolled: 2-line block ×3, first 2 shown]
	s_load_b64 s[30:31], s[4:5], 0x0
	s_load_b64 s[20:21], s[20:21], 0x0
	s_load_b32 s4, s[0:1], 0x84
	v_cmp_gt_i32_e64 s0, s17, v0
	v_lshlrev_b64 v[0:1], 3, v[0:1]
	s_bitcmp1_b32 s16, 0
	v_add_nc_u32_e32 v19, 0x1800, v10
	s_cselect_b32 s1, -1, 0
	s_lshl_b64 s[16:17], s[22:23], 3
	s_waitcnt lgkmcnt(0)
	s_add_u32 s2, s20, s16
	s_addc_u32 s5, s21, s17
	s_lshl_b64 s[6:7], s[6:7], 3
	v_add_co_u32 v15, vcc_lo, s2, v0
	s_add_u32 s6, s30, s6
	v_add_co_ci_u32_e32 v16, vcc_lo, s5, v1, vcc_lo
	s_addc_u32 s2, s31, s7
	v_add_co_u32 v17, vcc_lo, s6, v0
	v_add_co_ci_u32_e32 v18, vcc_lo, s2, v1, vcc_lo
	s_cmp_gt_i32 s18, 0
	s_cselect_b32 s5, -1, 0
	s_branch .LBB40_4
.LBB40_3:                               ;   in Loop: Header=BB40_4 Depth=1
	s_add_i32 s14, s14, s4
	s_delay_alu instid0(SALU_CYCLE_1)
	s_cmp_gt_i32 s14, s12
	s_cbranch_scc1 .LBB40_13
.LBB40_4:                               ; =>This Loop Header: Depth=1
                                        ;     Child Loop BB40_7 Depth 2
	s_and_not1_b32 vcc_lo, exec_lo, s5
	s_cbranch_vccnz .LBB40_3
; %bb.5:                                ;   in Loop: Header=BB40_4 Depth=1
	v_lshl_add_u32 v20, s14, 5, v8
	s_mov_b32 s6, 0
	s_delay_alu instid0(VALU_DEP_1) | instskip(SKIP_3) | instid1(VALU_DEP_4)
	v_ashrrev_i32_e32 v2, 31, v20
	v_mul_lo_u32 v3, v20, s29
	v_mad_u64_u32 v[0:1], null, v20, s28, 0
	v_cmp_gt_i32_e32 vcc_lo, s18, v20
	v_mul_lo_u32 v2, v2, s28
	s_delay_alu instid0(VALU_DEP_1) | instskip(NEXT) | instid1(VALU_DEP_1)
	v_add3_u32 v1, v1, v3, v2
	v_lshlrev_b64 v[0:1], 3, v[0:1]
	s_delay_alu instid0(VALU_DEP_1) | instskip(NEXT) | instid1(VALU_DEP_1)
	v_add_co_u32 v0, s2, v15, v0
	v_add_co_ci_u32_e64 v1, s2, v16, v1, s2
	s_and_b32 s2, s0, vcc_lo
	s_branch .LBB40_7
.LBB40_6:                               ;   in Loop: Header=BB40_7 Depth=2
	s_or_b32 exec_lo, exec_lo, s7
	s_add_i32 s6, s6, 32
	s_waitcnt_vscnt null, 0x0
	s_cmp_ge_i32 s6, s18
	s_barrier
	buffer_gl0_inv
	s_cbranch_scc1 .LBB40_3
.LBB40_7:                               ;   Parent Loop BB40_4 Depth=1
                                        ; =>  This Inner Loop Header: Depth=2
	v_add_nc_u32_e32 v4, s6, v8
	v_mov_b32_e32 v2, 0
	v_mov_b32_e32 v3, 0
	s_delay_alu instid0(VALU_DEP_3) | instskip(NEXT) | instid1(VALU_DEP_2)
	v_cmp_gt_i32_e32 vcc_lo, s18, v4
	v_dual_mov_b32 v6, v3 :: v_dual_mov_b32 v5, v2
	s_and_b32 s9, s0, vcc_lo
	s_delay_alu instid0(SALU_CYCLE_1)
	s_and_saveexec_b32 s7, s9
	s_cbranch_execz .LBB40_9
; %bb.8:                                ;   in Loop: Header=BB40_7 Depth=2
	v_ashrrev_i32_e32 v21, 31, v4
	v_mul_lo_u32 v22, v4, s27
	v_mad_u64_u32 v[5:6], null, v4, s26, 0
	s_delay_alu instid0(VALU_DEP_3) | instskip(NEXT) | instid1(VALU_DEP_1)
	v_mul_lo_u32 v4, v21, s26
	v_add3_u32 v6, v6, v22, v4
	s_delay_alu instid0(VALU_DEP_1) | instskip(NEXT) | instid1(VALU_DEP_1)
	v_lshlrev_b64 v[4:5], 3, v[5:6]
	v_add_co_u32 v4, vcc_lo, v17, v4
	s_delay_alu instid0(VALU_DEP_2)
	v_add_co_ci_u32_e32 v5, vcc_lo, v18, v5, vcc_lo
	global_load_b64 v[5:6], v[4:5], off
.LBB40_9:                               ;   in Loop: Header=BB40_7 Depth=2
	s_or_b32 exec_lo, exec_lo, s7
	v_add_nc_u32_e32 v21, s6, v7
	s_mov_b32 s7, exec_lo
	s_waitcnt vmcnt(0)
	ds_store_b64 v11, v[5:6]
	v_cndmask_b32_e64 v4, v20, v21, s1
	v_cndmask_b32_e64 v22, v21, v20, s1
	s_delay_alu instid0(VALU_DEP_1) | instskip(SKIP_1) | instid1(VALU_DEP_1)
	v_cmp_gt_i32_e32 vcc_lo, v4, v22
	v_dual_cndmask_b32 v4, v21, v20 :: v_dual_cndmask_b32 v21, v20, v21
	v_max_i32_e32 v22, v4, v21
	s_delay_alu instid0(VALU_DEP_1)
	v_cmpx_gt_i32_e64 s18, v22
	s_cbranch_execz .LBB40_11
; %bb.10:                               ;   in Loop: Header=BB40_7 Depth=2
	v_ashrrev_i32_e32 v5, 31, v21
	v_mul_lo_u32 v6, v21, s11
	v_mad_u64_u32 v[2:3], null, v21, s10, 0
	s_delay_alu instid0(VALU_DEP_3) | instskip(NEXT) | instid1(VALU_DEP_1)
	v_mul_lo_u32 v5, v5, s10
	v_add3_u32 v3, v3, v6, v5
	v_ashrrev_i32_e32 v5, 31, v4
	s_delay_alu instid0(VALU_DEP_2) | instskip(NEXT) | instid1(VALU_DEP_2)
	v_lshlrev_b64 v[2:3], 3, v[2:3]
	v_lshlrev_b64 v[4:5], 3, v[4:5]
	s_delay_alu instid0(VALU_DEP_2) | instskip(NEXT) | instid1(VALU_DEP_3)
	v_add_co_u32 v2, vcc_lo, s3, v2
	v_add_co_ci_u32_e32 v3, vcc_lo, s8, v3, vcc_lo
	s_delay_alu instid0(VALU_DEP_2) | instskip(NEXT) | instid1(VALU_DEP_2)
	v_add_co_u32 v2, vcc_lo, v2, v4
	v_add_co_ci_u32_e32 v3, vcc_lo, v3, v5, vcc_lo
	global_load_b64 v[2:3], v[2:3], off
.LBB40_11:                              ;   in Loop: Header=BB40_7 Depth=2
	s_or_b32 exec_lo, exec_lo, s7
	s_waitcnt vmcnt(0)
	ds_store_b64 v12, v[2:3]
	s_waitcnt lgkmcnt(0)
	s_barrier
	buffer_gl0_inv
	s_and_saveexec_b32 s7, s2
	s_cbranch_execz .LBB40_6
; %bb.12:                               ;   in Loop: Header=BB40_7 Depth=2
	ds_load_2addr_b64 v[2:5], v10 offset1:32
	ds_load_b128 v[21:24], v9
	ds_load_b128 v[25:28], v9 offset:16
	s_waitcnt lgkmcnt(1)
	v_fma_f64 v[2:3], v[21:22], v[2:3], 0
	s_delay_alu instid0(VALU_DEP_1) | instskip(SKIP_3) | instid1(VALU_DEP_1)
	v_fma_f64 v[21:22], v[23:24], v[4:5], v[2:3]
	ds_load_2addr_b64 v[2:5], v10 offset0:64 offset1:96
	s_waitcnt lgkmcnt(0)
	v_fma_f64 v[2:3], v[25:26], v[2:3], v[21:22]
	v_fma_f64 v[29:30], v[27:28], v[4:5], v[2:3]
	ds_load_2addr_b64 v[2:5], v10 offset0:128 offset1:160
	ds_load_b128 v[21:24], v9 offset:32
	ds_load_b128 v[25:28], v9 offset:48
	s_waitcnt lgkmcnt(1)
	v_fma_f64 v[2:3], v[21:22], v[2:3], v[29:30]
	s_delay_alu instid0(VALU_DEP_1) | instskip(SKIP_3) | instid1(VALU_DEP_1)
	v_fma_f64 v[21:22], v[23:24], v[4:5], v[2:3]
	ds_load_2addr_b64 v[2:5], v10 offset0:192 offset1:224
	s_waitcnt lgkmcnt(0)
	v_fma_f64 v[2:3], v[25:26], v[2:3], v[21:22]
	v_fma_f64 v[29:30], v[27:28], v[4:5], v[2:3]
	ds_load_2addr_b64 v[2:5], v13 offset1:32
	ds_load_b128 v[21:24], v9 offset:64
	ds_load_b128 v[25:28], v9 offset:80
	s_waitcnt lgkmcnt(1)
	v_fma_f64 v[2:3], v[21:22], v[2:3], v[29:30]
	s_delay_alu instid0(VALU_DEP_1) | instskip(SKIP_3) | instid1(VALU_DEP_1)
	v_fma_f64 v[21:22], v[23:24], v[4:5], v[2:3]
	ds_load_2addr_b64 v[2:5], v13 offset0:64 offset1:96
	s_waitcnt lgkmcnt(0)
	v_fma_f64 v[2:3], v[25:26], v[2:3], v[21:22]
	v_fma_f64 v[29:30], v[27:28], v[4:5], v[2:3]
	ds_load_2addr_b64 v[2:5], v13 offset0:128 offset1:160
	ds_load_b128 v[21:24], v9 offset:96
	ds_load_b128 v[25:28], v9 offset:112
	s_waitcnt lgkmcnt(1)
	v_fma_f64 v[2:3], v[21:22], v[2:3], v[29:30]
	s_delay_alu instid0(VALU_DEP_1) | instskip(SKIP_3) | instid1(VALU_DEP_1)
	v_fma_f64 v[21:22], v[23:24], v[4:5], v[2:3]
	ds_load_2addr_b64 v[2:5], v13 offset0:192 offset1:224
	s_waitcnt lgkmcnt(0)
	v_fma_f64 v[2:3], v[25:26], v[2:3], v[21:22]
	v_fma_f64 v[29:30], v[27:28], v[4:5], v[2:3]
	ds_load_2addr_b64 v[2:5], v14 offset1:32
	ds_load_b128 v[21:24], v9 offset:128
	;; [unrolled: 22-line block ×3, first 2 shown]
	global_load_b64 v[31:32], v[0:1], off
	ds_load_b128 v[25:28], v9 offset:208
	s_waitcnt lgkmcnt(1)
	v_fma_f64 v[2:3], v[21:22], v[2:3], v[29:30]
	s_delay_alu instid0(VALU_DEP_1) | instskip(SKIP_3) | instid1(VALU_DEP_1)
	v_fma_f64 v[21:22], v[23:24], v[4:5], v[2:3]
	ds_load_2addr_b64 v[2:5], v19 offset0:64 offset1:96
	s_waitcnt lgkmcnt(0)
	v_fma_f64 v[2:3], v[25:26], v[2:3], v[21:22]
	v_fma_f64 v[29:30], v[27:28], v[4:5], v[2:3]
	ds_load_2addr_b64 v[2:5], v19 offset0:128 offset1:160
	ds_load_b128 v[21:24], v9 offset:224
	ds_load_b128 v[25:28], v9 offset:240
	s_waitcnt lgkmcnt(1)
	v_fma_f64 v[2:3], v[21:22], v[2:3], v[29:30]
	s_delay_alu instid0(VALU_DEP_1) | instskip(SKIP_3) | instid1(VALU_DEP_1)
	v_fma_f64 v[21:22], v[23:24], v[4:5], v[2:3]
	ds_load_2addr_b64 v[2:5], v19 offset0:192 offset1:224
	s_waitcnt lgkmcnt(0)
	v_fma_f64 v[2:3], v[25:26], v[2:3], v[21:22]
	v_fma_f64 v[2:3], v[27:28], v[4:5], v[2:3]
	s_waitcnt vmcnt(0)
	s_delay_alu instid0(VALU_DEP_1)
	v_fma_f64 v[2:3], s[24:25], v[2:3], v[31:32]
	global_store_b64 v[0:1], v[2:3], off
	s_branch .LBB40_6
.LBB40_13:
	s_endpgm
	.section	.rodata,"a",@progbits
	.p2align	6, 0x0
	.amdhsa_kernel _ZL24rocblas_symm_hemm_kernelILb0ELb1ELi32EPKdPKS1_PKPdEvbiiT2_T3_lllS8_lllT4_llli
		.amdhsa_group_segment_fixed_size 16384
		.amdhsa_private_segment_fixed_size 0
		.amdhsa_kernarg_size 384
		.amdhsa_user_sgpr_count 13
		.amdhsa_user_sgpr_dispatch_ptr 0
		.amdhsa_user_sgpr_queue_ptr 0
		.amdhsa_user_sgpr_kernarg_segment_ptr 1
		.amdhsa_user_sgpr_dispatch_id 0
		.amdhsa_user_sgpr_private_segment_size 0
		.amdhsa_wavefront_size32 1
		.amdhsa_uses_dynamic_stack 0
		.amdhsa_enable_private_segment 0
		.amdhsa_system_sgpr_workgroup_id_x 1
		.amdhsa_system_sgpr_workgroup_id_y 1
		.amdhsa_system_sgpr_workgroup_id_z 1
		.amdhsa_system_sgpr_workgroup_info 0
		.amdhsa_system_vgpr_workitem_id 1
		.amdhsa_next_free_vgpr 33
		.amdhsa_next_free_sgpr 36
		.amdhsa_reserve_vcc 1
		.amdhsa_float_round_mode_32 0
		.amdhsa_float_round_mode_16_64 0
		.amdhsa_float_denorm_mode_32 3
		.amdhsa_float_denorm_mode_16_64 3
		.amdhsa_dx10_clamp 1
		.amdhsa_ieee_mode 1
		.amdhsa_fp16_overflow 0
		.amdhsa_workgroup_processor_mode 1
		.amdhsa_memory_ordered 1
		.amdhsa_forward_progress 0
		.amdhsa_shared_vgpr_count 0
		.amdhsa_exception_fp_ieee_invalid_op 0
		.amdhsa_exception_fp_denorm_src 0
		.amdhsa_exception_fp_ieee_div_zero 0
		.amdhsa_exception_fp_ieee_overflow 0
		.amdhsa_exception_fp_ieee_underflow 0
		.amdhsa_exception_fp_ieee_inexact 0
		.amdhsa_exception_int_div_zero 0
	.end_amdhsa_kernel
	.section	.text._ZL24rocblas_symm_hemm_kernelILb0ELb1ELi32EPKdPKS1_PKPdEvbiiT2_T3_lllS8_lllT4_llli,"axG",@progbits,_ZL24rocblas_symm_hemm_kernelILb0ELb1ELi32EPKdPKS1_PKPdEvbiiT2_T3_lllS8_lllT4_llli,comdat
.Lfunc_end40:
	.size	_ZL24rocblas_symm_hemm_kernelILb0ELb1ELi32EPKdPKS1_PKPdEvbiiT2_T3_lllS8_lllT4_llli, .Lfunc_end40-_ZL24rocblas_symm_hemm_kernelILb0ELb1ELi32EPKdPKS1_PKPdEvbiiT2_T3_lllS8_lllT4_llli
                                        ; -- End function
	.section	.AMDGPU.csdata,"",@progbits
; Kernel info:
; codeLenInByte = 1528
; NumSgprs: 38
; NumVgprs: 33
; ScratchSize: 0
; MemoryBound: 0
; FloatMode: 240
; IeeeMode: 1
; LDSByteSize: 16384 bytes/workgroup (compile time only)
; SGPRBlocks: 4
; VGPRBlocks: 4
; NumSGPRsForWavesPerEU: 38
; NumVGPRsForWavesPerEU: 33
; Occupancy: 16
; WaveLimiterHint : 1
; COMPUTE_PGM_RSRC2:SCRATCH_EN: 0
; COMPUTE_PGM_RSRC2:USER_SGPR: 13
; COMPUTE_PGM_RSRC2:TRAP_HANDLER: 0
; COMPUTE_PGM_RSRC2:TGID_X_EN: 1
; COMPUTE_PGM_RSRC2:TGID_Y_EN: 1
; COMPUTE_PGM_RSRC2:TGID_Z_EN: 1
; COMPUTE_PGM_RSRC2:TIDIG_COMP_CNT: 1
	.section	.text._ZL25rocblas_symm_scale_kernelILi128ELi8EdPKPdEviiT1_T2_llli,"axG",@progbits,_ZL25rocblas_symm_scale_kernelILi128ELi8EdPKPdEviiT1_T2_llli,comdat
	.globl	_ZL25rocblas_symm_scale_kernelILi128ELi8EdPKPdEviiT1_T2_llli ; -- Begin function _ZL25rocblas_symm_scale_kernelILi128ELi8EdPKPdEviiT1_T2_llli
	.p2align	8
	.type	_ZL25rocblas_symm_scale_kernelILi128ELi8EdPKPdEviiT1_T2_llli,@function
_ZL25rocblas_symm_scale_kernelILi128ELi8EdPKPdEviiT1_T2_llli: ; @_ZL25rocblas_symm_scale_kernelILi128ELi8EdPKPdEviiT1_T2_llli
; %bb.0:
	s_load_b256 s[4:11], s[0:1], 0x8
	s_waitcnt lgkmcnt(0)
	v_cmp_eq_f64_e64 s2, s[4:5], 1.0
	s_delay_alu instid0(VALU_DEP_1)
	s_and_b32 vcc_lo, exec_lo, s2
	s_cbranch_vccnz .LBB41_7
; %bb.1:
	s_load_b64 s[2:3], s[0:1], 0x0
	v_bfe_u32 v2, v0, 10, 10
	v_and_b32_e32 v3, 0x3ff, v0
	v_mov_b32_e32 v1, 0
	s_mov_b32 s12, s15
	s_delay_alu instid0(VALU_DEP_3) | instskip(NEXT) | instid1(VALU_DEP_3)
	v_lshl_add_u32 v0, s14, 3, v2
	v_lshl_add_u32 v2, s13, 7, v3
	s_waitcnt lgkmcnt(0)
	s_ashr_i32 s15, s3, 31
	s_mov_b32 s14, s3
	s_delay_alu instid0(VALU_DEP_1) | instskip(SKIP_1) | instid1(VALU_DEP_2)
	v_cmp_gt_u32_e64 s2, s2, v2
	v_cmp_gt_i64_e32 vcc_lo, s[14:15], v[0:1]
	s_and_b32 s2, s2, vcc_lo
	s_delay_alu instid0(SALU_CYCLE_1)
	s_and_saveexec_b32 s3, s2
	s_cbranch_execz .LBB41_7
; %bb.2:
	v_mad_u64_u32 v[4:5], null, s10, v0, 0
	s_load_b32 s16, s[0:1], 0x3c
	s_mov_b32 s13, 0
	s_delay_alu instid0(SALU_CYCLE_1) | instskip(NEXT) | instid1(SALU_CYCLE_1)
	s_lshl_b64 s[0:1], s[12:13], 3
	s_add_u32 s0, s6, s0
	s_delay_alu instid0(VALU_DEP_1) | instskip(SKIP_3) | instid1(VALU_DEP_1)
	v_mov_b32_e32 v3, v5
	s_addc_u32 s1, s7, s1
	s_lshl_b64 s[6:7], s[8:9], 3
	s_load_b64 s[2:3], s[0:1], 0x0
	v_mad_u64_u32 v[5:6], null, s11, v0, v[3:4]
	v_mov_b32_e32 v3, v1
	s_delay_alu instid0(VALU_DEP_1) | instskip(NEXT) | instid1(VALU_DEP_3)
	v_lshlrev_b64 v[2:3], 3, v[2:3]
	v_lshlrev_b64 v[4:5], 3, v[4:5]
	s_waitcnt lgkmcnt(0)
	s_lshl_b32 s1, s16, 3
	s_delay_alu instid0(SALU_CYCLE_1) | instskip(SKIP_1) | instid1(VALU_DEP_1)
	s_mul_i32 s0, s11, s1
	s_mul_i32 s8, s10, s1
	v_add_co_u32 v4, vcc_lo, v4, s6
	s_mul_hi_u32 s6, s10, s1
	v_add_co_ci_u32_e32 v5, vcc_lo, s7, v5, vcc_lo
	s_add_i32 s9, s6, s0
	v_cmp_neq_f64_e64 s6, s[4:5], 0
	v_add_co_u32 v2, vcc_lo, v4, v2
	s_delay_alu instid0(VALU_DEP_3) | instskip(NEXT) | instid1(VALU_DEP_2)
	v_add_co_ci_u32_e32 v3, vcc_lo, v5, v3, vcc_lo
	v_add_co_u32 v2, vcc_lo, s2, v2
	s_delay_alu instid0(VALU_DEP_2)
	v_add_co_ci_u32_e32 v3, vcc_lo, s3, v3, vcc_lo
	s_lshl_b64 s[2:3], s[8:9], 3
	s_branch .LBB41_5
	.p2align	6
.LBB41_3:                               ;   in Loop: Header=BB41_5 Depth=1
	global_load_b64 v[4:5], v[2:3], off
	s_waitcnt vmcnt(0)
	v_mul_f64 v[4:5], v[4:5], s[4:5]
.LBB41_4:                               ;   in Loop: Header=BB41_5 Depth=1
	v_add_co_u32 v0, vcc_lo, v0, s1
	v_add_co_ci_u32_e32 v1, vcc_lo, 0, v1, vcc_lo
	global_store_b64 v[2:3], v[4:5], off
	v_add_co_u32 v2, s0, v2, s2
	v_cmp_le_i64_e32 vcc_lo, s[14:15], v[0:1]
	v_add_co_ci_u32_e64 v3, s0, s3, v3, s0
	s_or_b32 s13, vcc_lo, s13
	s_delay_alu instid0(SALU_CYCLE_1)
	s_and_not1_b32 exec_lo, exec_lo, s13
	s_cbranch_execz .LBB41_7
.LBB41_5:                               ; =>This Inner Loop Header: Depth=1
	s_and_not1_b32 vcc_lo, exec_lo, s6
	s_cbranch_vccz .LBB41_3
; %bb.6:                                ;   in Loop: Header=BB41_5 Depth=1
	v_mov_b32_e32 v4, 0
	v_mov_b32_e32 v5, 0
	s_branch .LBB41_4
.LBB41_7:
	s_nop 0
	s_sendmsg sendmsg(MSG_DEALLOC_VGPRS)
	s_endpgm
	.section	.rodata,"a",@progbits
	.p2align	6, 0x0
	.amdhsa_kernel _ZL25rocblas_symm_scale_kernelILi128ELi8EdPKPdEviiT1_T2_llli
		.amdhsa_group_segment_fixed_size 0
		.amdhsa_private_segment_fixed_size 0
		.amdhsa_kernarg_size 312
		.amdhsa_user_sgpr_count 13
		.amdhsa_user_sgpr_dispatch_ptr 0
		.amdhsa_user_sgpr_queue_ptr 0
		.amdhsa_user_sgpr_kernarg_segment_ptr 1
		.amdhsa_user_sgpr_dispatch_id 0
		.amdhsa_user_sgpr_private_segment_size 0
		.amdhsa_wavefront_size32 1
		.amdhsa_uses_dynamic_stack 0
		.amdhsa_enable_private_segment 0
		.amdhsa_system_sgpr_workgroup_id_x 1
		.amdhsa_system_sgpr_workgroup_id_y 1
		.amdhsa_system_sgpr_workgroup_id_z 1
		.amdhsa_system_sgpr_workgroup_info 0
		.amdhsa_system_vgpr_workitem_id 1
		.amdhsa_next_free_vgpr 7
		.amdhsa_next_free_sgpr 17
		.amdhsa_reserve_vcc 1
		.amdhsa_float_round_mode_32 0
		.amdhsa_float_round_mode_16_64 0
		.amdhsa_float_denorm_mode_32 3
		.amdhsa_float_denorm_mode_16_64 3
		.amdhsa_dx10_clamp 1
		.amdhsa_ieee_mode 1
		.amdhsa_fp16_overflow 0
		.amdhsa_workgroup_processor_mode 1
		.amdhsa_memory_ordered 1
		.amdhsa_forward_progress 0
		.amdhsa_shared_vgpr_count 0
		.amdhsa_exception_fp_ieee_invalid_op 0
		.amdhsa_exception_fp_denorm_src 0
		.amdhsa_exception_fp_ieee_div_zero 0
		.amdhsa_exception_fp_ieee_overflow 0
		.amdhsa_exception_fp_ieee_underflow 0
		.amdhsa_exception_fp_ieee_inexact 0
		.amdhsa_exception_int_div_zero 0
	.end_amdhsa_kernel
	.section	.text._ZL25rocblas_symm_scale_kernelILi128ELi8EdPKPdEviiT1_T2_llli,"axG",@progbits,_ZL25rocblas_symm_scale_kernelILi128ELi8EdPKPdEviiT1_T2_llli,comdat
.Lfunc_end41:
	.size	_ZL25rocblas_symm_scale_kernelILi128ELi8EdPKPdEviiT1_T2_llli, .Lfunc_end41-_ZL25rocblas_symm_scale_kernelILi128ELi8EdPKPdEviiT1_T2_llli
                                        ; -- End function
	.section	.AMDGPU.csdata,"",@progbits
; Kernel info:
; codeLenInByte = 412
; NumSgprs: 19
; NumVgprs: 7
; ScratchSize: 0
; MemoryBound: 1
; FloatMode: 240
; IeeeMode: 1
; LDSByteSize: 0 bytes/workgroup (compile time only)
; SGPRBlocks: 2
; VGPRBlocks: 0
; NumSGPRsForWavesPerEU: 19
; NumVGPRsForWavesPerEU: 7
; Occupancy: 16
; WaveLimiterHint : 0
; COMPUTE_PGM_RSRC2:SCRATCH_EN: 0
; COMPUTE_PGM_RSRC2:USER_SGPR: 13
; COMPUTE_PGM_RSRC2:TRAP_HANDLER: 0
; COMPUTE_PGM_RSRC2:TGID_X_EN: 1
; COMPUTE_PGM_RSRC2:TGID_Y_EN: 1
; COMPUTE_PGM_RSRC2:TGID_Z_EN: 1
; COMPUTE_PGM_RSRC2:TIDIG_COMP_CNT: 1
	.section	.text._ZL24rocblas_symm_hemm_kernelILb0ELb0ELi32EdPKPKdPKPdEvbiiT2_T3_lllS8_lllT4_llli,"axG",@progbits,_ZL24rocblas_symm_hemm_kernelILb0ELb0ELi32EdPKPKdPKPdEvbiiT2_T3_lllS8_lllT4_llli,comdat
	.globl	_ZL24rocblas_symm_hemm_kernelILb0ELb0ELi32EdPKPKdPKPdEvbiiT2_T3_lllS8_lllT4_llli ; -- Begin function _ZL24rocblas_symm_hemm_kernelILb0ELb0ELi32EdPKPKdPKPdEvbiiT2_T3_lllS8_lllT4_llli
	.p2align	8
	.type	_ZL24rocblas_symm_hemm_kernelILb0ELb0ELi32EdPKPKdPKPdEvbiiT2_T3_lllS8_lllT4_llli,@function
_ZL24rocblas_symm_hemm_kernelILb0ELb0ELi32EdPKPKdPKPdEvbiiT2_T3_lllS8_lllT4_llli: ; @_ZL24rocblas_symm_hemm_kernelILb0ELb0ELi32EdPKPKdPKPdEvbiiT2_T3_lllS8_lllT4_llli
; %bb.0:
	s_load_b256 s[4:11], s[0:1], 0x10
	s_waitcnt lgkmcnt(0)
	v_cmp_eq_f64_e64 s3, s[4:5], 0
	s_delay_alu instid0(VALU_DEP_1)
	s_and_b32 vcc_lo, exec_lo, s3
	s_cbranch_vccnz .LBB42_13
; %bb.1:
	s_load_b128 s[16:19], s[0:1], 0x0
	s_waitcnt lgkmcnt(0)
	s_add_i32 s3, s18, -1
	s_delay_alu instid0(SALU_CYCLE_1) | instskip(NEXT) | instid1(SALU_CYCLE_1)
	s_ashr_i32 s12, s3, 31
	s_lshr_b32 s12, s12, 27
	s_delay_alu instid0(SALU_CYCLE_1) | instskip(NEXT) | instid1(SALU_CYCLE_1)
	s_add_i32 s3, s3, s12
	s_ashr_i32 s12, s3, 5
	s_delay_alu instid0(SALU_CYCLE_1)
	s_cmp_gt_i32 s14, s12
	s_cbranch_scc1 .LBB42_13
; %bb.2:
	s_mov_b32 s2, s15
	s_mov_b32 s3, 0
	v_and_b32_e32 v9, 0x3ff, v0
	s_lshl_b64 s[28:29], s[2:3], 3
	v_bfe_u32 v8, v0, 10, 10
	s_add_u32 s2, s6, s28
	s_addc_u32 s3, s7, s29
	s_load_b64 s[20:21], s[2:3], 0x0
	s_load_b128 s[24:27], s[0:1], 0x38
	s_lshl_b64 s[8:9], s[8:9], 3
	v_lshl_add_u32 v0, s13, 5, v9
	s_load_b64 s[6:7], s[0:1], 0x48
	v_lshlrev_b32_e32 v2, 3, v8
	v_lshlrev_b32_e32 v10, 8, v9
	s_delay_alu instid0(VALU_DEP_3) | instskip(NEXT) | instid1(VALU_DEP_3)
	v_ashrrev_i32_e32 v1, 31, v0
	v_or_b32_e32 v11, 0x2000, v2
	s_delay_alu instid0(VALU_DEP_3) | instskip(NEXT) | instid1(VALU_DEP_3)
	v_add_nc_u32_e32 v12, v10, v2
	v_lshlrev_b64 v[1:2], 3, v[0:1]
	s_delay_alu instid0(VALU_DEP_3)
	v_add_nc_u32_e32 v13, v11, v10
	v_add_nc_u32_e32 v14, 0x800, v11
	;; [unrolled: 1-line block ×4, first 2 shown]
	s_waitcnt lgkmcnt(0)
	s_add_u32 s3, s20, s8
	s_addc_u32 s15, s21, s9
	s_add_u32 s8, s24, s28
	s_addc_u32 s9, s25, s29
	s_load_b64 s[24:25], s[8:9], 0x0
	s_clause 0x2
	s_load_b128 s[20:23], s[0:1], 0x58
	s_load_b64 s[8:9], s[0:1], 0x68
	s_load_b32 s13, s[0:1], 0x84
	s_lshl_b64 s[26:27], s[26:27], 3
	v_cmp_gt_i32_e64 s0, s17, v0
	s_waitcnt lgkmcnt(0)
	s_add_u32 s19, s24, s26
	s_addc_u32 s24, s25, s27
	s_add_u32 s20, s20, s28
	s_addc_u32 s21, s21, s29
	s_bitcmp1_b32 s16, 0
	s_load_b64 s[20:21], s[20:21], 0x0
	s_cselect_b32 s1, -1, 0
	s_lshl_b64 s[22:23], s[22:23], 3
	s_waitcnt lgkmcnt(0)
	s_add_u32 s2, s20, s22
	s_addc_u32 s16, s21, s23
	v_add_co_u32 v16, vcc_lo, s2, v1
	v_add_co_ci_u32_e32 v17, vcc_lo, s16, v2, vcc_lo
	s_cmp_gt_i32 s17, 0
	s_cselect_b32 s16, -1, 0
	s_branch .LBB42_4
.LBB42_3:                               ;   in Loop: Header=BB42_4 Depth=1
	s_add_i32 s14, s14, s13
	s_delay_alu instid0(SALU_CYCLE_1)
	s_cmp_gt_i32 s14, s12
	s_cbranch_scc1 .LBB42_13
.LBB42_4:                               ; =>This Loop Header: Depth=1
                                        ;     Child Loop BB42_7 Depth 2
	s_and_not1_b32 vcc_lo, exec_lo, s16
	s_cbranch_vccnz .LBB42_3
; %bb.5:                                ;   in Loop: Header=BB42_4 Depth=1
	v_lshl_add_u32 v5, s14, 5, v8
	s_mov_b32 s21, 0
	s_delay_alu instid0(VALU_DEP_1) | instskip(SKIP_3) | instid1(VALU_DEP_4)
	v_ashrrev_i32_e32 v6, 31, v5
	v_mul_lo_u32 v7, v5, s7
	v_mad_u64_u32 v[1:2], null, v5, s6, 0
	v_mul_lo_u32 v20, v5, s9
	v_mul_lo_u32 v19, v6, s6
	v_mad_u64_u32 v[3:4], null, v5, s8, 0
	v_mul_lo_u32 v6, v6, s8
	v_cmp_gt_i32_e32 vcc_lo, s18, v5
	s_delay_alu instid0(VALU_DEP_4) | instskip(SKIP_1) | instid1(VALU_DEP_3)
	v_add3_u32 v2, v2, v7, v19
	s_and_b32 s20, s0, vcc_lo
	v_add3_u32 v4, v4, v20, v6
	s_delay_alu instid0(VALU_DEP_2) | instskip(NEXT) | instid1(VALU_DEP_2)
	v_lshlrev_b64 v[1:2], 3, v[1:2]
	v_lshlrev_b64 v[3:4], 3, v[3:4]
	s_delay_alu instid0(VALU_DEP_2) | instskip(NEXT) | instid1(VALU_DEP_1)
	v_add_co_u32 v19, s2, s19, v1
	v_add_co_ci_u32_e64 v20, s2, s24, v2, s2
	s_delay_alu instid0(VALU_DEP_3) | instskip(NEXT) | instid1(VALU_DEP_1)
	v_add_co_u32 v1, s2, v16, v3
	v_add_co_ci_u32_e64 v2, s2, v17, v4, s2
	s_branch .LBB42_7
.LBB42_6:                               ;   in Loop: Header=BB42_7 Depth=2
	s_or_b32 exec_lo, exec_lo, s2
	s_add_i32 s21, s21, 32
	s_waitcnt_vscnt null, 0x0
	s_cmp_ge_i32 s21, s17
	s_barrier
	buffer_gl0_inv
	s_cbranch_scc1 .LBB42_3
.LBB42_7:                               ;   Parent Loop BB42_4 Depth=1
                                        ; =>  This Inner Loop Header: Depth=2
	v_add_nc_u32_e32 v3, s21, v8
	s_delay_alu instid0(VALU_DEP_1) | instskip(SKIP_1) | instid1(VALU_DEP_1)
	v_cndmask_b32_e64 v4, v3, v0, s1
	v_cndmask_b32_e64 v5, v0, v3, s1
	v_cmp_gt_i32_e64 s2, v4, v5
	s_delay_alu instid0(VALU_DEP_1) | instskip(SKIP_3) | instid1(VALU_DEP_3)
	v_cndmask_b32_e64 v5, v0, v3, s2
	v_cndmask_b32_e64 v21, v3, v0, s2
	v_mov_b32_e32 v3, 0
	v_mov_b32_e32 v4, 0
	v_max_i32_e32 v6, v5, v21
	s_delay_alu instid0(VALU_DEP_1) | instskip(NEXT) | instid1(VALU_DEP_3)
	v_cmp_gt_i32_e64 s2, s17, v6
	v_dual_mov_b32 v7, v4 :: v_dual_mov_b32 v6, v3
	s_delay_alu instid0(VALU_DEP_2)
	s_and_saveexec_b32 s22, s2
	s_cbranch_execz .LBB42_9
; %bb.8:                                ;   in Loop: Header=BB42_7 Depth=2
	v_ashrrev_i32_e32 v6, 31, v21
	v_mul_lo_u32 v7, v21, s11
	v_mad_u64_u32 v[22:23], null, v21, s10, 0
	s_delay_alu instid0(VALU_DEP_3) | instskip(NEXT) | instid1(VALU_DEP_1)
	v_mul_lo_u32 v6, v6, s10
	v_add3_u32 v23, v23, v7, v6
	v_ashrrev_i32_e32 v6, 31, v5
	s_delay_alu instid0(VALU_DEP_2) | instskip(NEXT) | instid1(VALU_DEP_2)
	v_lshlrev_b64 v[21:22], 3, v[22:23]
	v_lshlrev_b64 v[5:6], 3, v[5:6]
	s_delay_alu instid0(VALU_DEP_2) | instskip(NEXT) | instid1(VALU_DEP_1)
	v_add_co_u32 v7, s2, s3, v21
	v_add_co_ci_u32_e64 v21, s2, s15, v22, s2
	s_delay_alu instid0(VALU_DEP_2) | instskip(NEXT) | instid1(VALU_DEP_1)
	v_add_co_u32 v5, s2, v7, v5
	v_add_co_ci_u32_e64 v6, s2, v21, v6, s2
	global_load_b64 v[6:7], v[5:6], off
.LBB42_9:                               ;   in Loop: Header=BB42_7 Depth=2
	s_or_b32 exec_lo, exec_lo, s22
	v_add_nc_u32_e32 v5, s21, v9
	s_waitcnt vmcnt(0)
	ds_store_b64 v12, v[6:7]
	v_cmp_gt_i32_e64 s2, s17, v5
	s_delay_alu instid0(VALU_DEP_1) | instskip(NEXT) | instid1(SALU_CYCLE_1)
	s_and_b32 s2, s2, vcc_lo
	s_and_saveexec_b32 s22, s2
	s_cbranch_execz .LBB42_11
; %bb.10:                               ;   in Loop: Header=BB42_7 Depth=2
	v_ashrrev_i32_e32 v6, 31, v5
	s_delay_alu instid0(VALU_DEP_1) | instskip(NEXT) | instid1(VALU_DEP_1)
	v_lshlrev_b64 v[3:4], 3, v[5:6]
	v_add_co_u32 v3, s2, v19, v3
	s_delay_alu instid0(VALU_DEP_1)
	v_add_co_ci_u32_e64 v4, s2, v20, v4, s2
	global_load_b64 v[3:4], v[3:4], off
.LBB42_11:                              ;   in Loop: Header=BB42_7 Depth=2
	s_or_b32 exec_lo, exec_lo, s22
	s_waitcnt vmcnt(0)
	ds_store_b64 v13, v[3:4]
	s_waitcnt lgkmcnt(0)
	s_barrier
	buffer_gl0_inv
	s_and_saveexec_b32 s2, s20
	s_cbranch_execz .LBB42_6
; %bb.12:                               ;   in Loop: Header=BB42_7 Depth=2
	ds_load_2addr_b64 v[3:6], v11 offset1:32
	ds_load_b128 v[21:24], v10
	ds_load_b128 v[25:28], v10 offset:16
	s_waitcnt lgkmcnt(1)
	v_fma_f64 v[3:4], v[21:22], v[3:4], 0
	s_delay_alu instid0(VALU_DEP_1) | instskip(SKIP_3) | instid1(VALU_DEP_1)
	v_fma_f64 v[21:22], v[23:24], v[5:6], v[3:4]
	ds_load_2addr_b64 v[3:6], v11 offset0:64 offset1:96
	s_waitcnt lgkmcnt(0)
	v_fma_f64 v[3:4], v[25:26], v[3:4], v[21:22]
	v_fma_f64 v[29:30], v[27:28], v[5:6], v[3:4]
	ds_load_2addr_b64 v[3:6], v11 offset0:128 offset1:160
	ds_load_b128 v[21:24], v10 offset:32
	ds_load_b128 v[25:28], v10 offset:48
	s_waitcnt lgkmcnt(1)
	v_fma_f64 v[3:4], v[21:22], v[3:4], v[29:30]
	s_delay_alu instid0(VALU_DEP_1) | instskip(SKIP_3) | instid1(VALU_DEP_1)
	v_fma_f64 v[21:22], v[23:24], v[5:6], v[3:4]
	ds_load_2addr_b64 v[3:6], v11 offset0:192 offset1:224
	s_waitcnt lgkmcnt(0)
	v_fma_f64 v[3:4], v[25:26], v[3:4], v[21:22]
	v_fma_f64 v[29:30], v[27:28], v[5:6], v[3:4]
	ds_load_2addr_b64 v[3:6], v14 offset1:32
	ds_load_b128 v[21:24], v10 offset:64
	ds_load_b128 v[25:28], v10 offset:80
	s_waitcnt lgkmcnt(1)
	v_fma_f64 v[3:4], v[21:22], v[3:4], v[29:30]
	s_delay_alu instid0(VALU_DEP_1) | instskip(SKIP_3) | instid1(VALU_DEP_1)
	v_fma_f64 v[21:22], v[23:24], v[5:6], v[3:4]
	ds_load_2addr_b64 v[3:6], v14 offset0:64 offset1:96
	s_waitcnt lgkmcnt(0)
	v_fma_f64 v[3:4], v[25:26], v[3:4], v[21:22]
	v_fma_f64 v[29:30], v[27:28], v[5:6], v[3:4]
	ds_load_2addr_b64 v[3:6], v14 offset0:128 offset1:160
	ds_load_b128 v[21:24], v10 offset:96
	ds_load_b128 v[25:28], v10 offset:112
	s_waitcnt lgkmcnt(1)
	v_fma_f64 v[3:4], v[21:22], v[3:4], v[29:30]
	s_delay_alu instid0(VALU_DEP_1) | instskip(SKIP_3) | instid1(VALU_DEP_1)
	v_fma_f64 v[21:22], v[23:24], v[5:6], v[3:4]
	ds_load_2addr_b64 v[3:6], v14 offset0:192 offset1:224
	s_waitcnt lgkmcnt(0)
	v_fma_f64 v[3:4], v[25:26], v[3:4], v[21:22]
	v_fma_f64 v[29:30], v[27:28], v[5:6], v[3:4]
	ds_load_2addr_b64 v[3:6], v15 offset1:32
	ds_load_b128 v[21:24], v10 offset:128
	;; [unrolled: 22-line block ×3, first 2 shown]
	global_load_b64 v[31:32], v[1:2], off
	ds_load_b128 v[25:28], v10 offset:208
	s_waitcnt lgkmcnt(1)
	v_fma_f64 v[3:4], v[21:22], v[3:4], v[29:30]
	s_delay_alu instid0(VALU_DEP_1) | instskip(SKIP_3) | instid1(VALU_DEP_1)
	v_fma_f64 v[21:22], v[23:24], v[5:6], v[3:4]
	ds_load_2addr_b64 v[3:6], v18 offset0:64 offset1:96
	s_waitcnt lgkmcnt(0)
	v_fma_f64 v[3:4], v[25:26], v[3:4], v[21:22]
	v_fma_f64 v[29:30], v[27:28], v[5:6], v[3:4]
	ds_load_2addr_b64 v[3:6], v18 offset0:128 offset1:160
	ds_load_b128 v[21:24], v10 offset:224
	ds_load_b128 v[25:28], v10 offset:240
	s_waitcnt lgkmcnt(1)
	v_fma_f64 v[3:4], v[21:22], v[3:4], v[29:30]
	s_delay_alu instid0(VALU_DEP_1) | instskip(SKIP_3) | instid1(VALU_DEP_1)
	v_fma_f64 v[21:22], v[23:24], v[5:6], v[3:4]
	ds_load_2addr_b64 v[3:6], v18 offset0:192 offset1:224
	s_waitcnt lgkmcnt(0)
	v_fma_f64 v[3:4], v[25:26], v[3:4], v[21:22]
	v_fma_f64 v[3:4], v[27:28], v[5:6], v[3:4]
	s_waitcnt vmcnt(0)
	s_delay_alu instid0(VALU_DEP_1)
	v_fma_f64 v[3:4], v[3:4], s[4:5], v[31:32]
	global_store_b64 v[1:2], v[3:4], off
	s_branch .LBB42_6
.LBB42_13:
	s_endpgm
	.section	.rodata,"a",@progbits
	.p2align	6, 0x0
	.amdhsa_kernel _ZL24rocblas_symm_hemm_kernelILb0ELb0ELi32EdPKPKdPKPdEvbiiT2_T3_lllS8_lllT4_llli
		.amdhsa_group_segment_fixed_size 16384
		.amdhsa_private_segment_fixed_size 0
		.amdhsa_kernarg_size 384
		.amdhsa_user_sgpr_count 13
		.amdhsa_user_sgpr_dispatch_ptr 0
		.amdhsa_user_sgpr_queue_ptr 0
		.amdhsa_user_sgpr_kernarg_segment_ptr 1
		.amdhsa_user_sgpr_dispatch_id 0
		.amdhsa_user_sgpr_private_segment_size 0
		.amdhsa_wavefront_size32 1
		.amdhsa_uses_dynamic_stack 0
		.amdhsa_enable_private_segment 0
		.amdhsa_system_sgpr_workgroup_id_x 1
		.amdhsa_system_sgpr_workgroup_id_y 1
		.amdhsa_system_sgpr_workgroup_id_z 1
		.amdhsa_system_sgpr_workgroup_info 0
		.amdhsa_system_vgpr_workitem_id 1
		.amdhsa_next_free_vgpr 33
		.amdhsa_next_free_sgpr 30
		.amdhsa_reserve_vcc 1
		.amdhsa_float_round_mode_32 0
		.amdhsa_float_round_mode_16_64 0
		.amdhsa_float_denorm_mode_32 3
		.amdhsa_float_denorm_mode_16_64 3
		.amdhsa_dx10_clamp 1
		.amdhsa_ieee_mode 1
		.amdhsa_fp16_overflow 0
		.amdhsa_workgroup_processor_mode 1
		.amdhsa_memory_ordered 1
		.amdhsa_forward_progress 0
		.amdhsa_shared_vgpr_count 0
		.amdhsa_exception_fp_ieee_invalid_op 0
		.amdhsa_exception_fp_denorm_src 0
		.amdhsa_exception_fp_ieee_div_zero 0
		.amdhsa_exception_fp_ieee_overflow 0
		.amdhsa_exception_fp_ieee_underflow 0
		.amdhsa_exception_fp_ieee_inexact 0
		.amdhsa_exception_int_div_zero 0
	.end_amdhsa_kernel
	.section	.text._ZL24rocblas_symm_hemm_kernelILb0ELb0ELi32EdPKPKdPKPdEvbiiT2_T3_lllS8_lllT4_llli,"axG",@progbits,_ZL24rocblas_symm_hemm_kernelILb0ELb0ELi32EdPKPKdPKPdEvbiiT2_T3_lllS8_lllT4_llli,comdat
.Lfunc_end42:
	.size	_ZL24rocblas_symm_hemm_kernelILb0ELb0ELi32EdPKPKdPKPdEvbiiT2_T3_lllS8_lllT4_llli, .Lfunc_end42-_ZL24rocblas_symm_hemm_kernelILb0ELb0ELi32EdPKPKdPKPdEvbiiT2_T3_lllS8_lllT4_llli
                                        ; -- End function
	.section	.AMDGPU.csdata,"",@progbits
; Kernel info:
; codeLenInByte = 1572
; NumSgprs: 32
; NumVgprs: 33
; ScratchSize: 0
; MemoryBound: 0
; FloatMode: 240
; IeeeMode: 1
; LDSByteSize: 16384 bytes/workgroup (compile time only)
; SGPRBlocks: 3
; VGPRBlocks: 4
; NumSGPRsForWavesPerEU: 32
; NumVGPRsForWavesPerEU: 33
; Occupancy: 16
; WaveLimiterHint : 1
; COMPUTE_PGM_RSRC2:SCRATCH_EN: 0
; COMPUTE_PGM_RSRC2:USER_SGPR: 13
; COMPUTE_PGM_RSRC2:TRAP_HANDLER: 0
; COMPUTE_PGM_RSRC2:TGID_X_EN: 1
; COMPUTE_PGM_RSRC2:TGID_Y_EN: 1
; COMPUTE_PGM_RSRC2:TGID_Z_EN: 1
; COMPUTE_PGM_RSRC2:TIDIG_COMP_CNT: 1
	.section	.text._ZL24rocblas_symm_hemm_kernelILb0ELb1ELi32EdPKPKdPKPdEvbiiT2_T3_lllS8_lllT4_llli,"axG",@progbits,_ZL24rocblas_symm_hemm_kernelILb0ELb1ELi32EdPKPKdPKPdEvbiiT2_T3_lllS8_lllT4_llli,comdat
	.globl	_ZL24rocblas_symm_hemm_kernelILb0ELb1ELi32EdPKPKdPKPdEvbiiT2_T3_lllS8_lllT4_llli ; -- Begin function _ZL24rocblas_symm_hemm_kernelILb0ELb1ELi32EdPKPKdPKPdEvbiiT2_T3_lllS8_lllT4_llli
	.p2align	8
	.type	_ZL24rocblas_symm_hemm_kernelILb0ELb1ELi32EdPKPKdPKPdEvbiiT2_T3_lllS8_lllT4_llli,@function
_ZL24rocblas_symm_hemm_kernelILb0ELb1ELi32EdPKPKdPKPdEvbiiT2_T3_lllS8_lllT4_llli: ; @_ZL24rocblas_symm_hemm_kernelILb0ELb1ELi32EdPKPKdPKPdEvbiiT2_T3_lllS8_lllT4_llli
; %bb.0:
	s_load_b256 s[4:11], s[0:1], 0x10
	s_waitcnt lgkmcnt(0)
	v_cmp_eq_f64_e64 s3, s[4:5], 0
	s_delay_alu instid0(VALU_DEP_1)
	s_and_b32 vcc_lo, exec_lo, s3
	s_cbranch_vccnz .LBB43_13
; %bb.1:
	s_load_b128 s[16:19], s[0:1], 0x0
	s_waitcnt lgkmcnt(0)
	s_add_i32 s3, s18, -1
	s_delay_alu instid0(SALU_CYCLE_1) | instskip(NEXT) | instid1(SALU_CYCLE_1)
	s_ashr_i32 s12, s3, 31
	s_lshr_b32 s12, s12, 27
	s_delay_alu instid0(SALU_CYCLE_1) | instskip(NEXT) | instid1(SALU_CYCLE_1)
	s_add_i32 s3, s3, s12
	s_ashr_i32 s12, s3, 5
	s_delay_alu instid0(SALU_CYCLE_1)
	s_cmp_gt_i32 s14, s12
	s_cbranch_scc1 .LBB43_13
; %bb.2:
	s_mov_b32 s2, s15
	s_mov_b32 s3, 0
	v_and_b32_e32 v7, 0x3ff, v0
	s_lshl_b64 s[30:31], s[2:3], 3
	v_bfe_u32 v8, v0, 10, 10
	s_add_u32 s2, s6, s30
	s_addc_u32 s3, s7, s31
	s_load_b64 s[34:35], s[2:3], 0x0
	s_clause 0x3
	s_load_b128 s[20:23], s[0:1], 0x38
	s_load_b128 s[24:27], s[0:1], 0x58
	s_load_b64 s[6:7], s[0:1], 0x48
	s_load_b64 s[28:29], s[0:1], 0x68
	s_lshl_b64 s[8:9], s[8:9], 3
	v_lshl_add_u32 v0, s13, 5, v7
	v_lshlrev_b32_e32 v2, 3, v8
	v_lshlrev_b32_e32 v9, 8, v7
	s_delay_alu instid0(VALU_DEP_3) | instskip(NEXT) | instid1(VALU_DEP_3)
	v_ashrrev_i32_e32 v1, 31, v0
	v_or_b32_e32 v10, 0x2000, v2
	s_delay_alu instid0(VALU_DEP_3) | instskip(NEXT) | instid1(VALU_DEP_2)
	v_add_nc_u32_e32 v11, v9, v2
	v_add_nc_u32_e32 v12, v10, v9
	v_add_nc_u32_e32 v13, 0x800, v10
	v_add_nc_u32_e32 v14, 0x1000, v10
	s_waitcnt lgkmcnt(0)
	s_add_u32 s3, s34, s8
	s_addc_u32 s8, s35, s9
	s_add_u32 s20, s20, s30
	s_addc_u32 s21, s21, s31
	;; [unrolled: 2-line block ×3, first 2 shown]
	s_load_b64 s[20:21], s[20:21], 0x0
	s_load_b64 s[24:25], s[24:25], 0x0
	s_load_b32 s9, s[0:1], 0x84
	v_cmp_gt_i32_e64 s0, s17, v0
	v_lshlrev_b64 v[0:1], 3, v[0:1]
	s_bitcmp1_b32 s16, 0
	v_add_nc_u32_e32 v19, 0x1800, v10
	s_cselect_b32 s1, -1, 0
	s_lshl_b64 s[16:17], s[26:27], 3
	s_waitcnt lgkmcnt(0)
	s_add_u32 s2, s24, s16
	s_addc_u32 s13, s25, s17
	s_lshl_b64 s[16:17], s[22:23], 3
	v_add_co_u32 v15, vcc_lo, s2, v0
	s_add_u32 s15, s20, s16
	v_add_co_ci_u32_e32 v16, vcc_lo, s13, v1, vcc_lo
	s_addc_u32 s2, s21, s17
	v_add_co_u32 v17, vcc_lo, s15, v0
	v_add_co_ci_u32_e32 v18, vcc_lo, s2, v1, vcc_lo
	s_cmp_gt_i32 s18, 0
	s_cselect_b32 s13, -1, 0
	s_branch .LBB43_4
.LBB43_3:                               ;   in Loop: Header=BB43_4 Depth=1
	s_add_i32 s14, s14, s9
	s_delay_alu instid0(SALU_CYCLE_1)
	s_cmp_gt_i32 s14, s12
	s_cbranch_scc1 .LBB43_13
.LBB43_4:                               ; =>This Loop Header: Depth=1
                                        ;     Child Loop BB43_7 Depth 2
	s_and_not1_b32 vcc_lo, exec_lo, s13
	s_cbranch_vccnz .LBB43_3
; %bb.5:                                ;   in Loop: Header=BB43_4 Depth=1
	v_lshl_add_u32 v20, s14, 5, v8
	s_mov_b32 s15, 0
	s_delay_alu instid0(VALU_DEP_1) | instskip(SKIP_3) | instid1(VALU_DEP_4)
	v_ashrrev_i32_e32 v2, 31, v20
	v_mul_lo_u32 v3, v20, s29
	v_mad_u64_u32 v[0:1], null, v20, s28, 0
	v_cmp_gt_i32_e32 vcc_lo, s18, v20
	v_mul_lo_u32 v2, v2, s28
	s_delay_alu instid0(VALU_DEP_1) | instskip(NEXT) | instid1(VALU_DEP_1)
	v_add3_u32 v1, v1, v3, v2
	v_lshlrev_b64 v[0:1], 3, v[0:1]
	s_delay_alu instid0(VALU_DEP_1) | instskip(NEXT) | instid1(VALU_DEP_1)
	v_add_co_u32 v0, s2, v15, v0
	v_add_co_ci_u32_e64 v1, s2, v16, v1, s2
	s_and_b32 s2, s0, vcc_lo
	s_branch .LBB43_7
.LBB43_6:                               ;   in Loop: Header=BB43_7 Depth=2
	s_or_b32 exec_lo, exec_lo, s16
	s_add_i32 s15, s15, 32
	s_waitcnt_vscnt null, 0x0
	s_cmp_ge_i32 s15, s18
	s_barrier
	buffer_gl0_inv
	s_cbranch_scc1 .LBB43_3
.LBB43_7:                               ;   Parent Loop BB43_4 Depth=1
                                        ; =>  This Inner Loop Header: Depth=2
	v_add_nc_u32_e32 v4, s15, v8
	v_mov_b32_e32 v2, 0
	v_mov_b32_e32 v3, 0
	s_delay_alu instid0(VALU_DEP_3) | instskip(NEXT) | instid1(VALU_DEP_2)
	v_cmp_gt_i32_e32 vcc_lo, s18, v4
	v_dual_mov_b32 v6, v3 :: v_dual_mov_b32 v5, v2
	s_and_b32 s17, s0, vcc_lo
	s_delay_alu instid0(SALU_CYCLE_1)
	s_and_saveexec_b32 s16, s17
	s_cbranch_execz .LBB43_9
; %bb.8:                                ;   in Loop: Header=BB43_7 Depth=2
	v_ashrrev_i32_e32 v21, 31, v4
	v_mul_lo_u32 v22, v4, s7
	v_mad_u64_u32 v[5:6], null, v4, s6, 0
	s_delay_alu instid0(VALU_DEP_3) | instskip(NEXT) | instid1(VALU_DEP_1)
	v_mul_lo_u32 v4, v21, s6
	v_add3_u32 v6, v6, v22, v4
	s_delay_alu instid0(VALU_DEP_1) | instskip(NEXT) | instid1(VALU_DEP_1)
	v_lshlrev_b64 v[4:5], 3, v[5:6]
	v_add_co_u32 v4, vcc_lo, v17, v4
	s_delay_alu instid0(VALU_DEP_2)
	v_add_co_ci_u32_e32 v5, vcc_lo, v18, v5, vcc_lo
	global_load_b64 v[5:6], v[4:5], off
.LBB43_9:                               ;   in Loop: Header=BB43_7 Depth=2
	s_or_b32 exec_lo, exec_lo, s16
	v_add_nc_u32_e32 v21, s15, v7
	s_mov_b32 s16, exec_lo
	s_waitcnt vmcnt(0)
	ds_store_b64 v11, v[5:6]
	v_cndmask_b32_e64 v4, v20, v21, s1
	v_cndmask_b32_e64 v22, v21, v20, s1
	s_delay_alu instid0(VALU_DEP_1) | instskip(SKIP_1) | instid1(VALU_DEP_1)
	v_cmp_gt_i32_e32 vcc_lo, v4, v22
	v_dual_cndmask_b32 v4, v21, v20 :: v_dual_cndmask_b32 v21, v20, v21
	v_max_i32_e32 v22, v4, v21
	s_delay_alu instid0(VALU_DEP_1)
	v_cmpx_gt_i32_e64 s18, v22
	s_cbranch_execz .LBB43_11
; %bb.10:                               ;   in Loop: Header=BB43_7 Depth=2
	v_ashrrev_i32_e32 v5, 31, v21
	v_mul_lo_u32 v6, v21, s11
	v_mad_u64_u32 v[2:3], null, v21, s10, 0
	s_delay_alu instid0(VALU_DEP_3) | instskip(NEXT) | instid1(VALU_DEP_1)
	v_mul_lo_u32 v5, v5, s10
	v_add3_u32 v3, v3, v6, v5
	v_ashrrev_i32_e32 v5, 31, v4
	s_delay_alu instid0(VALU_DEP_2) | instskip(NEXT) | instid1(VALU_DEP_2)
	v_lshlrev_b64 v[2:3], 3, v[2:3]
	v_lshlrev_b64 v[4:5], 3, v[4:5]
	s_delay_alu instid0(VALU_DEP_2) | instskip(NEXT) | instid1(VALU_DEP_3)
	v_add_co_u32 v2, vcc_lo, s3, v2
	v_add_co_ci_u32_e32 v3, vcc_lo, s8, v3, vcc_lo
	s_delay_alu instid0(VALU_DEP_2) | instskip(NEXT) | instid1(VALU_DEP_2)
	v_add_co_u32 v2, vcc_lo, v2, v4
	v_add_co_ci_u32_e32 v3, vcc_lo, v3, v5, vcc_lo
	global_load_b64 v[2:3], v[2:3], off
.LBB43_11:                              ;   in Loop: Header=BB43_7 Depth=2
	s_or_b32 exec_lo, exec_lo, s16
	s_waitcnt vmcnt(0)
	ds_store_b64 v12, v[2:3]
	s_waitcnt lgkmcnt(0)
	s_barrier
	buffer_gl0_inv
	s_and_saveexec_b32 s16, s2
	s_cbranch_execz .LBB43_6
; %bb.12:                               ;   in Loop: Header=BB43_7 Depth=2
	ds_load_2addr_b64 v[2:5], v10 offset1:32
	ds_load_b128 v[21:24], v9
	ds_load_b128 v[25:28], v9 offset:16
	s_waitcnt lgkmcnt(1)
	v_fma_f64 v[2:3], v[21:22], v[2:3], 0
	s_delay_alu instid0(VALU_DEP_1) | instskip(SKIP_3) | instid1(VALU_DEP_1)
	v_fma_f64 v[21:22], v[23:24], v[4:5], v[2:3]
	ds_load_2addr_b64 v[2:5], v10 offset0:64 offset1:96
	s_waitcnt lgkmcnt(0)
	v_fma_f64 v[2:3], v[25:26], v[2:3], v[21:22]
	v_fma_f64 v[29:30], v[27:28], v[4:5], v[2:3]
	ds_load_2addr_b64 v[2:5], v10 offset0:128 offset1:160
	ds_load_b128 v[21:24], v9 offset:32
	ds_load_b128 v[25:28], v9 offset:48
	s_waitcnt lgkmcnt(1)
	v_fma_f64 v[2:3], v[21:22], v[2:3], v[29:30]
	s_delay_alu instid0(VALU_DEP_1) | instskip(SKIP_3) | instid1(VALU_DEP_1)
	v_fma_f64 v[21:22], v[23:24], v[4:5], v[2:3]
	ds_load_2addr_b64 v[2:5], v10 offset0:192 offset1:224
	s_waitcnt lgkmcnt(0)
	v_fma_f64 v[2:3], v[25:26], v[2:3], v[21:22]
	v_fma_f64 v[29:30], v[27:28], v[4:5], v[2:3]
	ds_load_2addr_b64 v[2:5], v13 offset1:32
	ds_load_b128 v[21:24], v9 offset:64
	ds_load_b128 v[25:28], v9 offset:80
	s_waitcnt lgkmcnt(1)
	v_fma_f64 v[2:3], v[21:22], v[2:3], v[29:30]
	s_delay_alu instid0(VALU_DEP_1) | instskip(SKIP_3) | instid1(VALU_DEP_1)
	v_fma_f64 v[21:22], v[23:24], v[4:5], v[2:3]
	ds_load_2addr_b64 v[2:5], v13 offset0:64 offset1:96
	s_waitcnt lgkmcnt(0)
	v_fma_f64 v[2:3], v[25:26], v[2:3], v[21:22]
	v_fma_f64 v[29:30], v[27:28], v[4:5], v[2:3]
	ds_load_2addr_b64 v[2:5], v13 offset0:128 offset1:160
	ds_load_b128 v[21:24], v9 offset:96
	ds_load_b128 v[25:28], v9 offset:112
	s_waitcnt lgkmcnt(1)
	v_fma_f64 v[2:3], v[21:22], v[2:3], v[29:30]
	s_delay_alu instid0(VALU_DEP_1) | instskip(SKIP_3) | instid1(VALU_DEP_1)
	v_fma_f64 v[21:22], v[23:24], v[4:5], v[2:3]
	ds_load_2addr_b64 v[2:5], v13 offset0:192 offset1:224
	s_waitcnt lgkmcnt(0)
	v_fma_f64 v[2:3], v[25:26], v[2:3], v[21:22]
	v_fma_f64 v[29:30], v[27:28], v[4:5], v[2:3]
	ds_load_2addr_b64 v[2:5], v14 offset1:32
	ds_load_b128 v[21:24], v9 offset:128
	;; [unrolled: 22-line block ×3, first 2 shown]
	global_load_b64 v[31:32], v[0:1], off
	ds_load_b128 v[25:28], v9 offset:208
	s_waitcnt lgkmcnt(1)
	v_fma_f64 v[2:3], v[21:22], v[2:3], v[29:30]
	s_delay_alu instid0(VALU_DEP_1) | instskip(SKIP_3) | instid1(VALU_DEP_1)
	v_fma_f64 v[21:22], v[23:24], v[4:5], v[2:3]
	ds_load_2addr_b64 v[2:5], v19 offset0:64 offset1:96
	s_waitcnt lgkmcnt(0)
	v_fma_f64 v[2:3], v[25:26], v[2:3], v[21:22]
	v_fma_f64 v[29:30], v[27:28], v[4:5], v[2:3]
	ds_load_2addr_b64 v[2:5], v19 offset0:128 offset1:160
	ds_load_b128 v[21:24], v9 offset:224
	ds_load_b128 v[25:28], v9 offset:240
	s_waitcnt lgkmcnt(1)
	v_fma_f64 v[2:3], v[21:22], v[2:3], v[29:30]
	s_delay_alu instid0(VALU_DEP_1) | instskip(SKIP_3) | instid1(VALU_DEP_1)
	v_fma_f64 v[21:22], v[23:24], v[4:5], v[2:3]
	ds_load_2addr_b64 v[2:5], v19 offset0:192 offset1:224
	s_waitcnt lgkmcnt(0)
	v_fma_f64 v[2:3], v[25:26], v[2:3], v[21:22]
	v_fma_f64 v[2:3], v[27:28], v[4:5], v[2:3]
	s_waitcnt vmcnt(0)
	s_delay_alu instid0(VALU_DEP_1)
	v_fma_f64 v[2:3], v[2:3], s[4:5], v[31:32]
	global_store_b64 v[0:1], v[2:3], off
	s_branch .LBB43_6
.LBB43_13:
	s_endpgm
	.section	.rodata,"a",@progbits
	.p2align	6, 0x0
	.amdhsa_kernel _ZL24rocblas_symm_hemm_kernelILb0ELb1ELi32EdPKPKdPKPdEvbiiT2_T3_lllS8_lllT4_llli
		.amdhsa_group_segment_fixed_size 16384
		.amdhsa_private_segment_fixed_size 0
		.amdhsa_kernarg_size 384
		.amdhsa_user_sgpr_count 13
		.amdhsa_user_sgpr_dispatch_ptr 0
		.amdhsa_user_sgpr_queue_ptr 0
		.amdhsa_user_sgpr_kernarg_segment_ptr 1
		.amdhsa_user_sgpr_dispatch_id 0
		.amdhsa_user_sgpr_private_segment_size 0
		.amdhsa_wavefront_size32 1
		.amdhsa_uses_dynamic_stack 0
		.amdhsa_enable_private_segment 0
		.amdhsa_system_sgpr_workgroup_id_x 1
		.amdhsa_system_sgpr_workgroup_id_y 1
		.amdhsa_system_sgpr_workgroup_id_z 1
		.amdhsa_system_sgpr_workgroup_info 0
		.amdhsa_system_vgpr_workitem_id 1
		.amdhsa_next_free_vgpr 33
		.amdhsa_next_free_sgpr 36
		.amdhsa_reserve_vcc 1
		.amdhsa_float_round_mode_32 0
		.amdhsa_float_round_mode_16_64 0
		.amdhsa_float_denorm_mode_32 3
		.amdhsa_float_denorm_mode_16_64 3
		.amdhsa_dx10_clamp 1
		.amdhsa_ieee_mode 1
		.amdhsa_fp16_overflow 0
		.amdhsa_workgroup_processor_mode 1
		.amdhsa_memory_ordered 1
		.amdhsa_forward_progress 0
		.amdhsa_shared_vgpr_count 0
		.amdhsa_exception_fp_ieee_invalid_op 0
		.amdhsa_exception_fp_denorm_src 0
		.amdhsa_exception_fp_ieee_div_zero 0
		.amdhsa_exception_fp_ieee_overflow 0
		.amdhsa_exception_fp_ieee_underflow 0
		.amdhsa_exception_fp_ieee_inexact 0
		.amdhsa_exception_int_div_zero 0
	.end_amdhsa_kernel
	.section	.text._ZL24rocblas_symm_hemm_kernelILb0ELb1ELi32EdPKPKdPKPdEvbiiT2_T3_lllS8_lllT4_llli,"axG",@progbits,_ZL24rocblas_symm_hemm_kernelILb0ELb1ELi32EdPKPKdPKPdEvbiiT2_T3_lllS8_lllT4_llli,comdat
.Lfunc_end43:
	.size	_ZL24rocblas_symm_hemm_kernelILb0ELb1ELi32EdPKPKdPKPdEvbiiT2_T3_lllS8_lllT4_llli, .Lfunc_end43-_ZL24rocblas_symm_hemm_kernelILb0ELb1ELi32EdPKPKdPKPdEvbiiT2_T3_lllS8_lllT4_llli
                                        ; -- End function
	.section	.AMDGPU.csdata,"",@progbits
; Kernel info:
; codeLenInByte = 1516
; NumSgprs: 38
; NumVgprs: 33
; ScratchSize: 0
; MemoryBound: 0
; FloatMode: 240
; IeeeMode: 1
; LDSByteSize: 16384 bytes/workgroup (compile time only)
; SGPRBlocks: 4
; VGPRBlocks: 4
; NumSGPRsForWavesPerEU: 38
; NumVGPRsForWavesPerEU: 33
; Occupancy: 16
; WaveLimiterHint : 1
; COMPUTE_PGM_RSRC2:SCRATCH_EN: 0
; COMPUTE_PGM_RSRC2:USER_SGPR: 13
; COMPUTE_PGM_RSRC2:TRAP_HANDLER: 0
; COMPUTE_PGM_RSRC2:TGID_X_EN: 1
; COMPUTE_PGM_RSRC2:TGID_Y_EN: 1
; COMPUTE_PGM_RSRC2:TGID_Z_EN: 1
; COMPUTE_PGM_RSRC2:TIDIG_COMP_CNT: 1
	.section	.text._ZL25rocblas_symm_scale_kernelILi128ELi8EPK19rocblas_complex_numIfEPKPS1_EviiT1_T2_llli,"axG",@progbits,_ZL25rocblas_symm_scale_kernelILi128ELi8EPK19rocblas_complex_numIfEPKPS1_EviiT1_T2_llli,comdat
	.globl	_ZL25rocblas_symm_scale_kernelILi128ELi8EPK19rocblas_complex_numIfEPKPS1_EviiT1_T2_llli ; -- Begin function _ZL25rocblas_symm_scale_kernelILi128ELi8EPK19rocblas_complex_numIfEPKPS1_EviiT1_T2_llli
	.p2align	8
	.type	_ZL25rocblas_symm_scale_kernelILi128ELi8EPK19rocblas_complex_numIfEPKPS1_EviiT1_T2_llli,@function
_ZL25rocblas_symm_scale_kernelILi128ELi8EPK19rocblas_complex_numIfEPKPS1_EviiT1_T2_llli: ; @_ZL25rocblas_symm_scale_kernelILi128ELi8EPK19rocblas_complex_numIfEPKPS1_EviiT1_T2_llli
; %bb.0:
	s_load_b256 s[4:11], s[0:1], 0x8
	s_waitcnt lgkmcnt(0)
	s_load_b64 s[4:5], s[4:5], 0x0
	s_waitcnt lgkmcnt(0)
	v_cmp_eq_f32_e64 s2, s4, 1.0
	v_cmp_eq_f32_e64 s3, s5, 0
	s_delay_alu instid0(VALU_DEP_1) | instskip(NEXT) | instid1(SALU_CYCLE_1)
	s_and_b32 s2, s2, s3
	s_and_b32 vcc_lo, exec_lo, s2
	s_cbranch_vccnz .LBB44_6
; %bb.1:
	s_load_b64 s[2:3], s[0:1], 0x0
	v_bfe_u32 v2, v0, 10, 10
	v_and_b32_e32 v3, 0x3ff, v0
	v_mov_b32_e32 v1, 0
	s_mov_b32 s12, s15
	s_delay_alu instid0(VALU_DEP_3) | instskip(NEXT) | instid1(VALU_DEP_3)
	v_lshl_add_u32 v0, s14, 3, v2
	v_lshl_add_u32 v2, s13, 7, v3
	s_waitcnt lgkmcnt(0)
	s_ashr_i32 s15, s3, 31
	s_mov_b32 s14, s3
	s_delay_alu instid0(VALU_DEP_1) | instskip(SKIP_1) | instid1(VALU_DEP_2)
	v_cmp_gt_u32_e64 s2, s2, v2
	v_cmp_gt_i64_e32 vcc_lo, s[14:15], v[0:1]
	s_and_b32 s2, s2, vcc_lo
	s_delay_alu instid0(SALU_CYCLE_1)
	s_and_saveexec_b32 s3, s2
	s_cbranch_execz .LBB44_6
; %bb.2:
	v_mad_u64_u32 v[4:5], null, s10, v0, 0
	s_mov_b32 s13, 0
	s_load_b32 s16, s[0:1], 0x3c
	s_lshl_b64 s[0:1], s[12:13], 3
	s_delay_alu instid0(SALU_CYCLE_1) | instskip(SKIP_1) | instid1(VALU_DEP_1)
	s_add_u32 s0, s6, s0
	s_addc_u32 s1, s7, s1
	v_mov_b32_e32 v3, v5
	s_load_b64 s[2:3], s[0:1], 0x0
	s_or_b32 s6, s4, s5
	s_delay_alu instid0(SALU_CYCLE_1) | instskip(NEXT) | instid1(VALU_DEP_1)
	s_bitset0_b32 s6, 31
	v_mad_u64_u32 v[5:6], null, s11, v0, v[3:4]
	v_mov_b32_e32 v3, v1
	s_cmp_lg_u32 s6, 0
	s_cselect_b32 s1, -1, 0
	s_lshl_b64 s[8:9], s[8:9], 3
	s_delay_alu instid0(VALU_DEP_1) | instskip(NEXT) | instid1(VALU_DEP_3)
	v_lshlrev_b64 v[2:3], 3, v[2:3]
	v_lshlrev_b64 v[4:5], 3, v[4:5]
	s_waitcnt lgkmcnt(0)
	s_lshl_b32 s6, s16, 3
	s_delay_alu instid0(SALU_CYCLE_1) | instskip(SKIP_1) | instid1(VALU_DEP_1)
	s_mul_i32 s0, s11, s6
	s_mul_hi_u32 s7, s10, s6
	v_add_co_u32 v4, vcc_lo, v4, s8
	v_add_co_ci_u32_e32 v5, vcc_lo, s9, v5, vcc_lo
	s_delay_alu instid0(VALU_DEP_2) | instskip(NEXT) | instid1(VALU_DEP_2)
	v_add_co_u32 v2, vcc_lo, v4, v2
	v_add_co_ci_u32_e32 v3, vcc_lo, v5, v3, vcc_lo
	s_delay_alu instid0(VALU_DEP_2) | instskip(NEXT) | instid1(VALU_DEP_2)
	v_add_co_u32 v2, vcc_lo, v2, s2
	v_add_co_ci_u32_e32 v3, vcc_lo, s3, v3, vcc_lo
	s_add_i32 s3, s7, s0
	s_delay_alu instid0(VALU_DEP_2) | instskip(NEXT) | instid1(VALU_DEP_2)
	v_add_co_u32 v2, vcc_lo, v2, 4
	v_add_co_ci_u32_e32 v3, vcc_lo, 0, v3, vcc_lo
	s_mul_i32 s2, s10, s6
	s_delay_alu instid0(SALU_CYCLE_1)
	s_lshl_b64 s[2:3], s[2:3], 3
	s_set_inst_prefetch_distance 0x1
	s_branch .LBB44_4
	.p2align	6
.LBB44_3:                               ;   in Loop: Header=BB44_4 Depth=1
	v_add_co_u32 v0, vcc_lo, v0, s6
	v_add_co_ci_u32_e32 v1, vcc_lo, 0, v1, vcc_lo
	global_store_b64 v[2:3], v[4:5], off offset:-4
	v_add_co_u32 v2, s0, v2, s2
	v_cmp_le_i64_e32 vcc_lo, s[14:15], v[0:1]
	v_add_co_ci_u32_e64 v3, s0, s3, v3, s0
	s_or_b32 s13, vcc_lo, s13
	s_delay_alu instid0(SALU_CYCLE_1)
	s_and_not1_b32 exec_lo, exec_lo, s13
	s_cbranch_execz .LBB44_6
.LBB44_4:                               ; =>This Inner Loop Header: Depth=1
	v_dual_mov_b32 v5, 0 :: v_dual_mov_b32 v4, 0
	s_and_not1_b32 vcc_lo, exec_lo, s1
	s_cbranch_vccnz .LBB44_3
; %bb.5:                                ;   in Loop: Header=BB44_4 Depth=1
	global_load_b64 v[6:7], v[2:3], off offset:-4
	s_waitcnt vmcnt(0)
	v_mul_f32_e32 v5, s4, v7
	s_delay_alu instid0(VALU_DEP_1) | instskip(NEXT) | instid1(VALU_DEP_1)
	v_dual_mul_f32 v4, s5, v7 :: v_dual_fmac_f32 v5, s5, v6
	v_fma_f32 v4, v6, s4, -v4
	s_branch .LBB44_3
.LBB44_6:
	s_set_inst_prefetch_distance 0x2
	s_nop 0
	s_sendmsg sendmsg(MSG_DEALLOC_VGPRS)
	s_endpgm
	.section	.rodata,"a",@progbits
	.p2align	6, 0x0
	.amdhsa_kernel _ZL25rocblas_symm_scale_kernelILi128ELi8EPK19rocblas_complex_numIfEPKPS1_EviiT1_T2_llli
		.amdhsa_group_segment_fixed_size 0
		.amdhsa_private_segment_fixed_size 0
		.amdhsa_kernarg_size 312
		.amdhsa_user_sgpr_count 13
		.amdhsa_user_sgpr_dispatch_ptr 0
		.amdhsa_user_sgpr_queue_ptr 0
		.amdhsa_user_sgpr_kernarg_segment_ptr 1
		.amdhsa_user_sgpr_dispatch_id 0
		.amdhsa_user_sgpr_private_segment_size 0
		.amdhsa_wavefront_size32 1
		.amdhsa_uses_dynamic_stack 0
		.amdhsa_enable_private_segment 0
		.amdhsa_system_sgpr_workgroup_id_x 1
		.amdhsa_system_sgpr_workgroup_id_y 1
		.amdhsa_system_sgpr_workgroup_id_z 1
		.amdhsa_system_sgpr_workgroup_info 0
		.amdhsa_system_vgpr_workitem_id 1
		.amdhsa_next_free_vgpr 8
		.amdhsa_next_free_sgpr 17
		.amdhsa_reserve_vcc 1
		.amdhsa_float_round_mode_32 0
		.amdhsa_float_round_mode_16_64 0
		.amdhsa_float_denorm_mode_32 3
		.amdhsa_float_denorm_mode_16_64 3
		.amdhsa_dx10_clamp 1
		.amdhsa_ieee_mode 1
		.amdhsa_fp16_overflow 0
		.amdhsa_workgroup_processor_mode 1
		.amdhsa_memory_ordered 1
		.amdhsa_forward_progress 0
		.amdhsa_shared_vgpr_count 0
		.amdhsa_exception_fp_ieee_invalid_op 0
		.amdhsa_exception_fp_denorm_src 0
		.amdhsa_exception_fp_ieee_div_zero 0
		.amdhsa_exception_fp_ieee_overflow 0
		.amdhsa_exception_fp_ieee_underflow 0
		.amdhsa_exception_fp_ieee_inexact 0
		.amdhsa_exception_int_div_zero 0
	.end_amdhsa_kernel
	.section	.text._ZL25rocblas_symm_scale_kernelILi128ELi8EPK19rocblas_complex_numIfEPKPS1_EviiT1_T2_llli,"axG",@progbits,_ZL25rocblas_symm_scale_kernelILi128ELi8EPK19rocblas_complex_numIfEPKPS1_EviiT1_T2_llli,comdat
.Lfunc_end44:
	.size	_ZL25rocblas_symm_scale_kernelILi128ELi8EPK19rocblas_complex_numIfEPKPS1_EviiT1_T2_llli, .Lfunc_end44-_ZL25rocblas_symm_scale_kernelILi128ELi8EPK19rocblas_complex_numIfEPKPS1_EviiT1_T2_llli
                                        ; -- End function
	.section	.AMDGPU.csdata,"",@progbits
; Kernel info:
; codeLenInByte = 488
; NumSgprs: 19
; NumVgprs: 8
; ScratchSize: 0
; MemoryBound: 0
; FloatMode: 240
; IeeeMode: 1
; LDSByteSize: 0 bytes/workgroup (compile time only)
; SGPRBlocks: 2
; VGPRBlocks: 0
; NumSGPRsForWavesPerEU: 19
; NumVGPRsForWavesPerEU: 8
; Occupancy: 16
; WaveLimiterHint : 0
; COMPUTE_PGM_RSRC2:SCRATCH_EN: 0
; COMPUTE_PGM_RSRC2:USER_SGPR: 13
; COMPUTE_PGM_RSRC2:TRAP_HANDLER: 0
; COMPUTE_PGM_RSRC2:TGID_X_EN: 1
; COMPUTE_PGM_RSRC2:TGID_Y_EN: 1
; COMPUTE_PGM_RSRC2:TGID_Z_EN: 1
; COMPUTE_PGM_RSRC2:TIDIG_COMP_CNT: 1
	.section	.text._ZL24rocblas_symm_hemm_kernelILb0ELb0ELi32EPK19rocblas_complex_numIfEPKS3_PKPS1_EvbiiT2_T3_lllSA_lllT4_llli,"axG",@progbits,_ZL24rocblas_symm_hemm_kernelILb0ELb0ELi32EPK19rocblas_complex_numIfEPKS3_PKPS1_EvbiiT2_T3_lllSA_lllT4_llli,comdat
	.globl	_ZL24rocblas_symm_hemm_kernelILb0ELb0ELi32EPK19rocblas_complex_numIfEPKS3_PKPS1_EvbiiT2_T3_lllSA_lllT4_llli ; -- Begin function _ZL24rocblas_symm_hemm_kernelILb0ELb0ELi32EPK19rocblas_complex_numIfEPKS3_PKPS1_EvbiiT2_T3_lllSA_lllT4_llli
	.p2align	8
	.type	_ZL24rocblas_symm_hemm_kernelILb0ELb0ELi32EPK19rocblas_complex_numIfEPKS3_PKPS1_EvbiiT2_T3_lllSA_lllT4_llli,@function
_ZL24rocblas_symm_hemm_kernelILb0ELb0ELi32EPK19rocblas_complex_numIfEPKS3_PKPS1_EvbiiT2_T3_lllSA_lllT4_llli: ; @_ZL24rocblas_symm_hemm_kernelILb0ELb0ELi32EPK19rocblas_complex_numIfEPKS3_PKPS1_EvbiiT2_T3_lllSA_lllT4_llli
; %bb.0:
	s_load_b256 s[4:11], s[0:1], 0x10
	s_waitcnt lgkmcnt(0)
	s_load_b64 s[20:21], s[4:5], 0x0
	s_waitcnt lgkmcnt(0)
	v_cmp_eq_f32_e64 s3, s20, 0
	v_cmp_eq_f32_e64 s4, s21, 0
	s_delay_alu instid0(VALU_DEP_1) | instskip(NEXT) | instid1(SALU_CYCLE_1)
	s_and_b32 s3, s3, s4
	s_and_b32 vcc_lo, exec_lo, s3
	s_cbranch_vccnz .LBB45_15
; %bb.1:
	s_load_b128 s[16:19], s[0:1], 0x0
	s_waitcnt lgkmcnt(0)
	s_add_i32 s3, s18, -1
	s_delay_alu instid0(SALU_CYCLE_1) | instskip(NEXT) | instid1(SALU_CYCLE_1)
	s_ashr_i32 s4, s3, 31
	s_lshr_b32 s4, s4, 27
	s_delay_alu instid0(SALU_CYCLE_1) | instskip(NEXT) | instid1(SALU_CYCLE_1)
	s_add_i32 s3, s3, s4
	s_ashr_i32 s12, s3, 5
	s_delay_alu instid0(SALU_CYCLE_1)
	s_cmp_gt_i32 s14, s12
	s_cbranch_scc1 .LBB45_15
; %bb.2:
	s_mov_b32 s2, s15
	s_mov_b32 s3, 0
	v_and_b32_e32 v9, 0x3ff, v0
	s_lshl_b64 s[28:29], s[2:3], 3
	v_bfe_u32 v10, v0, 10, 10
	s_add_u32 s2, s6, s28
	s_addc_u32 s3, s7, s29
	s_load_b64 s[4:5], s[2:3], 0x0
	s_load_b128 s[24:27], s[0:1], 0x38
	s_lshl_b64 s[6:7], s[8:9], 3
	v_lshl_add_u32 v0, s13, 5, v9
	s_clause 0x1
	s_load_b64 s[8:9], s[0:1], 0x48
	s_load_b64 s[22:23], s[0:1], 0x68
	v_lshlrev_b32_e32 v2, 3, v10
	v_lshlrev_b32_e32 v11, 8, v9
	v_ashrrev_i32_e32 v1, 31, v0
	s_delay_alu instid0(VALU_DEP_3) | instskip(NEXT) | instid1(VALU_DEP_3)
	v_or_b32_e32 v13, 0x2000, v2
	v_add_nc_u32_e32 v12, v11, v2
	s_delay_alu instid0(VALU_DEP_3) | instskip(NEXT) | instid1(VALU_DEP_3)
	v_lshlrev_b64 v[1:2], 3, v[0:1]
	v_add_nc_u32_e32 v14, v13, v11
	s_waitcnt lgkmcnt(0)
	s_add_u32 s3, s4, s6
	s_addc_u32 s15, s5, s7
	s_add_u32 s4, s24, s28
	s_addc_u32 s5, s25, s29
	s_load_b64 s[24:25], s[4:5], 0x0
	s_load_b128 s[4:7], s[0:1], 0x58
	s_lshl_b64 s[26:27], s[26:27], 3
	s_waitcnt lgkmcnt(0)
	s_add_u32 s19, s24, s26
	s_addc_u32 s24, s25, s27
	s_add_u32 s4, s4, s28
	s_addc_u32 s5, s5, s29
	s_bitcmp1_b32 s16, 0
	s_load_b64 s[26:27], s[4:5], 0x0
	s_load_b32 s4, s[0:1], 0x84
	s_cselect_b32 s1, -1, 0
	s_lshl_b64 s[6:7], s[6:7], 3
	v_cmp_gt_i32_e64 s0, s17, v0
	s_waitcnt lgkmcnt(0)
	s_add_u32 s2, s26, s6
	s_addc_u32 s5, s27, s7
	v_add_co_u32 v15, vcc_lo, s2, v1
	v_add_co_ci_u32_e32 v16, vcc_lo, s5, v2, vcc_lo
	s_cmp_gt_i32 s17, 0
	s_cselect_b32 s5, -1, 0
	s_branch .LBB45_4
.LBB45_3:                               ;   in Loop: Header=BB45_4 Depth=1
	s_add_i32 s14, s14, s4
	s_delay_alu instid0(SALU_CYCLE_1)
	s_cmp_gt_i32 s14, s12
	s_cbranch_scc1 .LBB45_15
.LBB45_4:                               ; =>This Loop Header: Depth=1
                                        ;     Child Loop BB45_7 Depth 2
                                        ;       Child Loop BB45_13 Depth 3
	s_and_not1_b32 vcc_lo, exec_lo, s5
	s_cbranch_vccnz .LBB45_3
; %bb.5:                                ;   in Loop: Header=BB45_4 Depth=1
	v_lshl_add_u32 v5, s14, 5, v10
	s_mov_b32 s7, 0
	s_delay_alu instid0(VALU_DEP_1) | instskip(SKIP_3) | instid1(VALU_DEP_4)
	v_ashrrev_i32_e32 v6, 31, v5
	v_mul_lo_u32 v7, v5, s9
	v_mad_u64_u32 v[1:2], null, v5, s8, 0
	v_mul_lo_u32 v17, v5, s23
	v_mul_lo_u32 v8, v6, s8
	v_mad_u64_u32 v[3:4], null, v5, s22, 0
	v_mul_lo_u32 v6, v6, s22
	v_cmp_gt_i32_e32 vcc_lo, s18, v5
	s_delay_alu instid0(VALU_DEP_4) | instskip(SKIP_1) | instid1(VALU_DEP_3)
	v_add3_u32 v2, v2, v7, v8
	s_and_b32 s6, s0, vcc_lo
	v_add3_u32 v4, v4, v17, v6
	s_delay_alu instid0(VALU_DEP_2) | instskip(NEXT) | instid1(VALU_DEP_2)
	v_lshlrev_b64 v[1:2], 3, v[1:2]
	v_lshlrev_b64 v[3:4], 3, v[3:4]
	s_delay_alu instid0(VALU_DEP_2) | instskip(NEXT) | instid1(VALU_DEP_1)
	v_add_co_u32 v17, s2, s19, v1
	v_add_co_ci_u32_e64 v18, s2, s24, v2, s2
	s_delay_alu instid0(VALU_DEP_3) | instskip(NEXT) | instid1(VALU_DEP_1)
	v_add_co_u32 v1, s2, v15, v3
	v_add_co_ci_u32_e64 v2, s2, v16, v4, s2
	s_branch .LBB45_7
.LBB45_6:                               ;   in Loop: Header=BB45_7 Depth=2
	s_or_b32 exec_lo, exec_lo, s2
	s_add_i32 s7, s7, 32
	s_waitcnt_vscnt null, 0x0
	s_cmp_ge_i32 s7, s17
	s_barrier
	buffer_gl0_inv
	s_cbranch_scc1 .LBB45_3
.LBB45_7:                               ;   Parent Loop BB45_4 Depth=1
                                        ; =>  This Loop Header: Depth=2
                                        ;       Child Loop BB45_13 Depth 3
	v_add_nc_u32_e32 v3, s7, v10
	s_delay_alu instid0(VALU_DEP_1) | instskip(SKIP_1) | instid1(VALU_DEP_1)
	v_cndmask_b32_e64 v4, v3, v0, s1
	v_cndmask_b32_e64 v5, v0, v3, s1
	v_cmp_gt_i32_e64 s2, v4, v5
	v_mov_b32_e32 v5, 0
	s_delay_alu instid0(VALU_DEP_2) | instskip(SKIP_2) | instid1(VALU_DEP_2)
	v_cndmask_b32_e64 v4, v0, v3, s2
	v_cndmask_b32_e64 v7, v3, v0, s2
	v_mov_b32_e32 v3, 0
	v_max_i32_e32 v6, v4, v7
	s_delay_alu instid0(VALU_DEP_1) | instskip(SKIP_1) | instid1(VALU_DEP_2)
	v_cmp_gt_i32_e64 s2, s17, v6
	v_mov_b32_e32 v6, 0
	s_and_saveexec_b32 s13, s2
	s_cbranch_execz .LBB45_9
; %bb.8:                                ;   in Loop: Header=BB45_7 Depth=2
	v_ashrrev_i32_e32 v5, 31, v7
	v_mul_lo_u32 v6, v7, s11
	v_mad_u64_u32 v[19:20], null, v7, s10, 0
	s_delay_alu instid0(VALU_DEP_3) | instskip(NEXT) | instid1(VALU_DEP_1)
	v_mul_lo_u32 v5, v5, s10
	v_add3_u32 v20, v20, v6, v5
	v_ashrrev_i32_e32 v5, 31, v4
	s_delay_alu instid0(VALU_DEP_2) | instskip(NEXT) | instid1(VALU_DEP_2)
	v_lshlrev_b64 v[6:7], 3, v[19:20]
	v_lshlrev_b64 v[4:5], 3, v[4:5]
	s_delay_alu instid0(VALU_DEP_2) | instskip(NEXT) | instid1(VALU_DEP_1)
	v_add_co_u32 v6, s2, s3, v6
	v_add_co_ci_u32_e64 v7, s2, s15, v7, s2
	s_delay_alu instid0(VALU_DEP_2) | instskip(NEXT) | instid1(VALU_DEP_1)
	v_add_co_u32 v4, s2, v6, v4
	v_add_co_ci_u32_e64 v5, s2, v7, v5, s2
	global_load_b64 v[5:6], v[4:5], off
.LBB45_9:                               ;   in Loop: Header=BB45_7 Depth=2
	s_or_b32 exec_lo, exec_lo, s13
	v_dual_mov_b32 v4, 0 :: v_dual_add_nc_u32 v7, s7, v9
	s_waitcnt vmcnt(0)
	ds_store_b64 v12, v[5:6]
	v_cmp_gt_i32_e64 s2, s17, v7
	s_delay_alu instid0(VALU_DEP_1) | instskip(NEXT) | instid1(SALU_CYCLE_1)
	s_and_b32 s2, s2, vcc_lo
	s_and_saveexec_b32 s13, s2
	s_cbranch_execz .LBB45_11
; %bb.10:                               ;   in Loop: Header=BB45_7 Depth=2
	v_ashrrev_i32_e32 v8, 31, v7
	s_delay_alu instid0(VALU_DEP_1) | instskip(NEXT) | instid1(VALU_DEP_1)
	v_lshlrev_b64 v[3:4], 3, v[7:8]
	v_add_co_u32 v3, s2, v17, v3
	s_delay_alu instid0(VALU_DEP_1)
	v_add_co_ci_u32_e64 v4, s2, v18, v4, s2
	global_load_b64 v[3:4], v[3:4], off
.LBB45_11:                              ;   in Loop: Header=BB45_7 Depth=2
	s_or_b32 exec_lo, exec_lo, s13
	s_waitcnt vmcnt(0)
	ds_store_b64 v14, v[3:4]
	s_waitcnt lgkmcnt(0)
	s_barrier
	buffer_gl0_inv
	s_and_saveexec_b32 s2, s6
	s_cbranch_execz .LBB45_6
; %bb.12:                               ;   in Loop: Header=BB45_7 Depth=2
	v_dual_mov_b32 v4, 0 :: v_dual_mov_b32 v3, v13
	v_mov_b32_e32 v5, 0
	s_mov_b32 s13, 0
.LBB45_13:                              ;   Parent Loop BB45_4 Depth=1
                                        ;     Parent Loop BB45_7 Depth=2
                                        ; =>    This Inner Loop Header: Depth=3
	s_delay_alu instid0(SALU_CYCLE_1)
	v_add_nc_u32_e32 v6, s13, v11
	ds_load_2addr_b64 v[19:22], v3 offset1:32
	ds_load_2addr_b64 v[23:26], v3 offset0:64 offset1:96
	ds_load_2addr_b64 v[27:30], v3 offset0:128 offset1:160
	;; [unrolled: 1-line block ×3, first 2 shown]
	ds_load_b128 v[35:38], v6
	ds_load_b128 v[39:42], v6 offset:16
	ds_load_b128 v[43:46], v6 offset:32
	;; [unrolled: 1-line block ×3, first 2 shown]
	s_add_i32 s13, s13, 64
	v_add_nc_u32_e32 v3, 0x800, v3
	s_cmpk_eq_i32 s13, 0x100
	s_waitcnt lgkmcnt(3)
	v_mul_f32_e32 v7, v19, v36
	s_waitcnt lgkmcnt(2)
	v_dual_mul_f32 v6, v20, v36 :: v_dual_mul_f32 v51, v26, v42
	v_mul_f32_e32 v8, v22, v38
	s_delay_alu instid0(VALU_DEP_3) | instskip(NEXT) | instid1(VALU_DEP_3)
	v_dual_mul_f32 v36, v21, v38 :: v_dual_fmac_f32 v7, v20, v35
	v_fma_f32 v6, v19, v35, -v6
	s_waitcnt lgkmcnt(1)
	v_dual_mul_f32 v38, v24, v40 :: v_dual_mul_f32 v19, v30, v46
	s_delay_alu instid0(VALU_DEP_3) | instskip(SKIP_2) | instid1(VALU_DEP_4)
	v_dual_mul_f32 v40, v23, v40 :: v_dual_add_f32 v5, v5, v7
	v_fma_f32 v8, v21, v37, -v8
	v_add_f32_e32 v4, v4, v6
	v_fma_f32 v7, v23, v39, -v38
	s_delay_alu instid0(VALU_DEP_4) | instskip(SKIP_4) | instid1(VALU_DEP_1)
	v_fmac_f32_e32 v40, v24, v39
	v_fma_f32 v20, v25, v41, -v51
	v_fma_f32 v19, v29, v45, -v19
	v_add_f32_e32 v4, v4, v8
	s_waitcnt lgkmcnt(0)
	v_dual_add_f32 v4, v4, v7 :: v_dual_mul_f32 v7, v31, v48
	v_fmac_f32_e32 v36, v22, v37
	v_mul_f32_e32 v42, v25, v42
	s_delay_alu instid0(VALU_DEP_3) | instskip(NEXT) | instid1(VALU_DEP_4)
	v_add_f32_e32 v4, v4, v20
	v_fmac_f32_e32 v7, v32, v47
	s_delay_alu instid0(VALU_DEP_3) | instskip(NEXT) | instid1(VALU_DEP_1)
	v_dual_add_f32 v5, v5, v36 :: v_dual_fmac_f32 v42, v26, v41
	v_dual_mul_f32 v20, v34, v50 :: v_dual_add_f32 v5, v5, v40
	v_mul_f32_e32 v52, v28, v44
	s_delay_alu instid0(VALU_DEP_2) | instskip(NEXT) | instid1(VALU_DEP_2)
	v_dual_mul_f32 v44, v27, v44 :: v_dual_add_f32 v5, v5, v42
	v_fma_f32 v21, v27, v43, -v52
	s_delay_alu instid0(VALU_DEP_1) | instskip(SKIP_1) | instid1(VALU_DEP_4)
	v_dual_add_f32 v4, v4, v21 :: v_dual_mul_f32 v21, v33, v50
	v_mul_f32_e32 v6, v29, v46
	v_fmac_f32_e32 v44, v28, v43
	s_delay_alu instid0(VALU_DEP_3) | instskip(NEXT) | instid1(VALU_DEP_2)
	v_dual_add_f32 v4, v4, v19 :: v_dual_fmac_f32 v21, v34, v49
	v_dual_fmac_f32 v6, v30, v45 :: v_dual_add_f32 v5, v5, v44
	s_delay_alu instid0(VALU_DEP_1) | instskip(SKIP_1) | instid1(VALU_DEP_2)
	v_dual_add_f32 v5, v5, v6 :: v_dual_mul_f32 v8, v32, v48
	v_fma_f32 v6, v33, v49, -v20
	v_add_f32_e32 v5, v5, v7
	s_delay_alu instid0(VALU_DEP_3) | instskip(NEXT) | instid1(VALU_DEP_1)
	v_fma_f32 v8, v31, v47, -v8
	v_dual_add_f32 v5, v5, v21 :: v_dual_add_f32 v4, v4, v8
	s_delay_alu instid0(VALU_DEP_1)
	v_add_f32_e32 v4, v4, v6
	s_cbranch_scc0 .LBB45_13
; %bb.14:                               ;   in Loop: Header=BB45_7 Depth=2
	global_load_b64 v[6:7], v[1:2], off
	v_dual_mul_f32 v3, s21, v5 :: v_dual_mul_f32 v8, s21, v4
	s_delay_alu instid0(VALU_DEP_1) | instskip(SKIP_1) | instid1(VALU_DEP_1)
	v_fma_f32 v3, s20, v4, -v3
	s_waitcnt vmcnt(0)
	v_dual_fmac_f32 v8, s20, v5 :: v_dual_add_f32 v3, v3, v6
	s_delay_alu instid0(VALU_DEP_1)
	v_add_f32_e32 v4, v8, v7
	global_store_b64 v[1:2], v[3:4], off
	s_branch .LBB45_6
.LBB45_15:
	s_endpgm
	.section	.rodata,"a",@progbits
	.p2align	6, 0x0
	.amdhsa_kernel _ZL24rocblas_symm_hemm_kernelILb0ELb0ELi32EPK19rocblas_complex_numIfEPKS3_PKPS1_EvbiiT2_T3_lllSA_lllT4_llli
		.amdhsa_group_segment_fixed_size 16384
		.amdhsa_private_segment_fixed_size 0
		.amdhsa_kernarg_size 384
		.amdhsa_user_sgpr_count 13
		.amdhsa_user_sgpr_dispatch_ptr 0
		.amdhsa_user_sgpr_queue_ptr 0
		.amdhsa_user_sgpr_kernarg_segment_ptr 1
		.amdhsa_user_sgpr_dispatch_id 0
		.amdhsa_user_sgpr_private_segment_size 0
		.amdhsa_wavefront_size32 1
		.amdhsa_uses_dynamic_stack 0
		.amdhsa_enable_private_segment 0
		.amdhsa_system_sgpr_workgroup_id_x 1
		.amdhsa_system_sgpr_workgroup_id_y 1
		.amdhsa_system_sgpr_workgroup_id_z 1
		.amdhsa_system_sgpr_workgroup_info 0
		.amdhsa_system_vgpr_workitem_id 1
		.amdhsa_next_free_vgpr 53
		.amdhsa_next_free_sgpr 30
		.amdhsa_reserve_vcc 1
		.amdhsa_float_round_mode_32 0
		.amdhsa_float_round_mode_16_64 0
		.amdhsa_float_denorm_mode_32 3
		.amdhsa_float_denorm_mode_16_64 3
		.amdhsa_dx10_clamp 1
		.amdhsa_ieee_mode 1
		.amdhsa_fp16_overflow 0
		.amdhsa_workgroup_processor_mode 1
		.amdhsa_memory_ordered 1
		.amdhsa_forward_progress 0
		.amdhsa_shared_vgpr_count 0
		.amdhsa_exception_fp_ieee_invalid_op 0
		.amdhsa_exception_fp_denorm_src 0
		.amdhsa_exception_fp_ieee_div_zero 0
		.amdhsa_exception_fp_ieee_overflow 0
		.amdhsa_exception_fp_ieee_underflow 0
		.amdhsa_exception_fp_ieee_inexact 0
		.amdhsa_exception_int_div_zero 0
	.end_amdhsa_kernel
	.section	.text._ZL24rocblas_symm_hemm_kernelILb0ELb0ELi32EPK19rocblas_complex_numIfEPKS3_PKPS1_EvbiiT2_T3_lllSA_lllT4_llli,"axG",@progbits,_ZL24rocblas_symm_hemm_kernelILb0ELb0ELi32EPK19rocblas_complex_numIfEPKS3_PKPS1_EvbiiT2_T3_lllSA_lllT4_llli,comdat
.Lfunc_end45:
	.size	_ZL24rocblas_symm_hemm_kernelILb0ELb0ELi32EPK19rocblas_complex_numIfEPKS3_PKPS1_EvbiiT2_T3_lllSA_lllT4_llli, .Lfunc_end45-_ZL24rocblas_symm_hemm_kernelILb0ELb0ELi32EPK19rocblas_complex_numIfEPKS3_PKPS1_EvbiiT2_T3_lllSA_lllT4_llli
                                        ; -- End function
	.section	.AMDGPU.csdata,"",@progbits
; Kernel info:
; codeLenInByte = 1372
; NumSgprs: 32
; NumVgprs: 53
; ScratchSize: 0
; MemoryBound: 0
; FloatMode: 240
; IeeeMode: 1
; LDSByteSize: 16384 bytes/workgroup (compile time only)
; SGPRBlocks: 3
; VGPRBlocks: 6
; NumSGPRsForWavesPerEU: 32
; NumVGPRsForWavesPerEU: 53
; Occupancy: 16
; WaveLimiterHint : 1
; COMPUTE_PGM_RSRC2:SCRATCH_EN: 0
; COMPUTE_PGM_RSRC2:USER_SGPR: 13
; COMPUTE_PGM_RSRC2:TRAP_HANDLER: 0
; COMPUTE_PGM_RSRC2:TGID_X_EN: 1
; COMPUTE_PGM_RSRC2:TGID_Y_EN: 1
; COMPUTE_PGM_RSRC2:TGID_Z_EN: 1
; COMPUTE_PGM_RSRC2:TIDIG_COMP_CNT: 1
	.section	.text._ZL24rocblas_symm_hemm_kernelILb0ELb1ELi32EPK19rocblas_complex_numIfEPKS3_PKPS1_EvbiiT2_T3_lllSA_lllT4_llli,"axG",@progbits,_ZL24rocblas_symm_hemm_kernelILb0ELb1ELi32EPK19rocblas_complex_numIfEPKS3_PKPS1_EvbiiT2_T3_lllSA_lllT4_llli,comdat
	.globl	_ZL24rocblas_symm_hemm_kernelILb0ELb1ELi32EPK19rocblas_complex_numIfEPKS3_PKPS1_EvbiiT2_T3_lllSA_lllT4_llli ; -- Begin function _ZL24rocblas_symm_hemm_kernelILb0ELb1ELi32EPK19rocblas_complex_numIfEPKS3_PKPS1_EvbiiT2_T3_lllSA_lllT4_llli
	.p2align	8
	.type	_ZL24rocblas_symm_hemm_kernelILb0ELb1ELi32EPK19rocblas_complex_numIfEPKS3_PKPS1_EvbiiT2_T3_lllSA_lllT4_llli,@function
_ZL24rocblas_symm_hemm_kernelILb0ELb1ELi32EPK19rocblas_complex_numIfEPKS3_PKPS1_EvbiiT2_T3_lllSA_lllT4_llli: ; @_ZL24rocblas_symm_hemm_kernelILb0ELb1ELi32EPK19rocblas_complex_numIfEPKS3_PKPS1_EvbiiT2_T3_lllSA_lllT4_llli
; %bb.0:
	s_load_b256 s[4:11], s[0:1], 0x10
	s_waitcnt lgkmcnt(0)
	s_load_b64 s[24:25], s[4:5], 0x0
	s_waitcnt lgkmcnt(0)
	v_cmp_eq_f32_e64 s3, s24, 0
	v_cmp_eq_f32_e64 s4, s25, 0
	s_delay_alu instid0(VALU_DEP_1) | instskip(NEXT) | instid1(SALU_CYCLE_1)
	s_and_b32 s3, s3, s4
	s_and_b32 vcc_lo, exec_lo, s3
	s_cbranch_vccnz .LBB46_15
; %bb.1:
	s_load_b128 s[16:19], s[0:1], 0x0
	s_waitcnt lgkmcnt(0)
	s_add_i32 s3, s18, -1
	s_delay_alu instid0(SALU_CYCLE_1) | instskip(NEXT) | instid1(SALU_CYCLE_1)
	s_ashr_i32 s4, s3, 31
	s_lshr_b32 s4, s4, 27
	s_delay_alu instid0(SALU_CYCLE_1) | instskip(NEXT) | instid1(SALU_CYCLE_1)
	s_add_i32 s3, s3, s4
	s_ashr_i32 s12, s3, 5
	s_delay_alu instid0(SALU_CYCLE_1)
	s_cmp_gt_i32 s14, s12
	s_cbranch_scc1 .LBB46_15
; %bb.2:
	s_mov_b32 s2, s15
	s_mov_b32 s3, 0
	v_and_b32_e32 v8, 0x3ff, v0
	s_lshl_b64 s[28:29], s[2:3], 3
	v_bfe_u32 v9, v0, 10, 10
	s_add_u32 s2, s6, s28
	s_addc_u32 s3, s7, s29
	s_load_b64 s[30:31], s[2:3], 0x0
	s_clause 0x2
	s_load_b128 s[4:7], s[0:1], 0x38
	s_load_b128 s[20:23], s[0:1], 0x58
	s_load_b64 s[26:27], s[0:1], 0x48
	s_lshl_b64 s[34:35], s[8:9], 3
	v_lshl_add_u32 v0, s13, 5, v8
	s_load_b64 s[8:9], s[0:1], 0x68
	v_lshlrev_b32_e32 v2, 3, v9
	v_lshlrev_b32_e32 v10, 8, v8
	s_delay_alu instid0(VALU_DEP_3) | instskip(NEXT) | instid1(VALU_DEP_3)
	v_ashrrev_i32_e32 v1, 31, v0
	v_or_b32_e32 v12, 0x2000, v2
	s_delay_alu instid0(VALU_DEP_3) | instskip(NEXT) | instid1(VALU_DEP_2)
	v_add_nc_u32_e32 v11, v10, v2
	v_add_nc_u32_e32 v13, v12, v10
	s_waitcnt lgkmcnt(0)
	s_add_u32 s3, s30, s34
	s_addc_u32 s15, s31, s35
	s_add_u32 s4, s4, s28
	s_addc_u32 s5, s5, s29
	;; [unrolled: 2-line block ×3, first 2 shown]
	s_load_b64 s[28:29], s[4:5], 0x0
	s_load_b32 s4, s[0:1], 0x84
	s_load_b64 s[20:21], s[20:21], 0x0
	v_cmp_gt_i32_e64 s0, s17, v0
	s_bitcmp1_b32 s16, 0
	v_lshlrev_b64 v[0:1], 3, v[0:1]
	s_cselect_b32 s1, -1, 0
	s_lshl_b64 s[16:17], s[22:23], 3
	s_waitcnt lgkmcnt(0)
	s_add_u32 s2, s20, s16
	s_addc_u32 s5, s21, s17
	s_lshl_b64 s[6:7], s[6:7], 3
	v_add_co_u32 v14, vcc_lo, s2, v0
	s_add_u32 s6, s28, s6
	v_add_co_ci_u32_e32 v15, vcc_lo, s5, v1, vcc_lo
	s_addc_u32 s2, s29, s7
	v_add_co_u32 v16, vcc_lo, s6, v0
	v_add_co_ci_u32_e32 v17, vcc_lo, s2, v1, vcc_lo
	s_cmp_gt_i32 s18, 0
	s_cselect_b32 s5, -1, 0
	s_branch .LBB46_4
.LBB46_3:                               ;   in Loop: Header=BB46_4 Depth=1
	s_add_i32 s14, s14, s4
	s_delay_alu instid0(SALU_CYCLE_1)
	s_cmp_gt_i32 s14, s12
	s_cbranch_scc1 .LBB46_15
.LBB46_4:                               ; =>This Loop Header: Depth=1
                                        ;     Child Loop BB46_7 Depth 2
                                        ;       Child Loop BB46_13 Depth 3
	s_and_not1_b32 vcc_lo, exec_lo, s5
	s_cbranch_vccnz .LBB46_3
; %bb.5:                                ;   in Loop: Header=BB46_4 Depth=1
	v_lshl_add_u32 v18, s14, 5, v9
	s_mov_b32 s6, 0
	s_delay_alu instid0(VALU_DEP_1) | instskip(SKIP_3) | instid1(VALU_DEP_4)
	v_ashrrev_i32_e32 v2, 31, v18
	v_mul_lo_u32 v3, v18, s9
	v_mad_u64_u32 v[0:1], null, v18, s8, 0
	v_cmp_gt_i32_e32 vcc_lo, s18, v18
	v_mul_lo_u32 v2, v2, s8
	s_delay_alu instid0(VALU_DEP_1) | instskip(NEXT) | instid1(VALU_DEP_1)
	v_add3_u32 v1, v1, v3, v2
	v_lshlrev_b64 v[0:1], 3, v[0:1]
	s_delay_alu instid0(VALU_DEP_1) | instskip(NEXT) | instid1(VALU_DEP_1)
	v_add_co_u32 v0, s2, v14, v0
	v_add_co_ci_u32_e64 v1, s2, v15, v1, s2
	s_and_b32 s2, s0, vcc_lo
	s_branch .LBB46_7
.LBB46_6:                               ;   in Loop: Header=BB46_7 Depth=2
	s_or_b32 exec_lo, exec_lo, s7
	s_add_i32 s6, s6, 32
	s_waitcnt_vscnt null, 0x0
	s_cmp_ge_i32 s6, s18
	s_barrier
	buffer_gl0_inv
	s_cbranch_scc1 .LBB46_3
.LBB46_7:                               ;   Parent Loop BB46_4 Depth=1
                                        ; =>  This Loop Header: Depth=2
                                        ;       Child Loop BB46_13 Depth 3
	v_dual_mov_b32 v2, 0 :: v_dual_add_nc_u32 v3, s6, v9
	v_dual_mov_b32 v4, 0 :: v_dual_mov_b32 v5, 0
	s_delay_alu instid0(VALU_DEP_2) | instskip(SKIP_1) | instid1(SALU_CYCLE_1)
	v_cmp_gt_i32_e32 vcc_lo, s18, v3
	s_and_b32 s13, s0, vcc_lo
	s_and_saveexec_b32 s7, s13
	s_cbranch_execz .LBB46_9
; %bb.8:                                ;   in Loop: Header=BB46_7 Depth=2
	v_ashrrev_i32_e32 v6, 31, v3
	v_mul_lo_u32 v7, v3, s27
	v_mad_u64_u32 v[4:5], null, v3, s26, 0
	s_delay_alu instid0(VALU_DEP_3) | instskip(NEXT) | instid1(VALU_DEP_1)
	v_mul_lo_u32 v3, v6, s26
	v_add3_u32 v5, v5, v7, v3
	s_delay_alu instid0(VALU_DEP_1) | instskip(NEXT) | instid1(VALU_DEP_1)
	v_lshlrev_b64 v[3:4], 3, v[4:5]
	v_add_co_u32 v3, vcc_lo, v16, v3
	s_delay_alu instid0(VALU_DEP_2)
	v_add_co_ci_u32_e32 v4, vcc_lo, v17, v4, vcc_lo
	global_load_b64 v[4:5], v[3:4], off
.LBB46_9:                               ;   in Loop: Header=BB46_7 Depth=2
	s_or_b32 exec_lo, exec_lo, s7
	v_add_nc_u32_e32 v3, s6, v8
	s_waitcnt vmcnt(0)
	ds_store_b64 v11, v[4:5]
	v_cndmask_b32_e64 v6, v18, v3, s1
	v_cndmask_b32_e64 v7, v3, v18, s1
	s_delay_alu instid0(VALU_DEP_1) | instskip(SKIP_1) | instid1(VALU_DEP_1)
	v_cmp_gt_i32_e32 vcc_lo, v6, v7
	v_dual_cndmask_b32 v6, v3, v18 :: v_dual_cndmask_b32 v7, v18, v3
	v_max_i32_e32 v3, v6, v7
	s_delay_alu instid0(VALU_DEP_1)
	v_cmp_gt_i32_e32 vcc_lo, s18, v3
	v_mov_b32_e32 v3, 0
	s_and_saveexec_b32 s7, vcc_lo
	s_cbranch_execz .LBB46_11
; %bb.10:                               ;   in Loop: Header=BB46_7 Depth=2
	v_ashrrev_i32_e32 v4, 31, v7
	v_mul_lo_u32 v5, v7, s11
	v_mad_u64_u32 v[2:3], null, v7, s10, 0
	v_ashrrev_i32_e32 v7, 31, v6
	s_delay_alu instid0(VALU_DEP_4) | instskip(NEXT) | instid1(VALU_DEP_1)
	v_mul_lo_u32 v4, v4, s10
	v_add3_u32 v3, v3, v5, v4
	s_delay_alu instid0(VALU_DEP_3) | instskip(NEXT) | instid1(VALU_DEP_2)
	v_lshlrev_b64 v[4:5], 3, v[6:7]
	v_lshlrev_b64 v[2:3], 3, v[2:3]
	s_delay_alu instid0(VALU_DEP_1) | instskip(NEXT) | instid1(VALU_DEP_2)
	v_add_co_u32 v2, vcc_lo, s3, v2
	v_add_co_ci_u32_e32 v3, vcc_lo, s15, v3, vcc_lo
	s_delay_alu instid0(VALU_DEP_2) | instskip(NEXT) | instid1(VALU_DEP_2)
	v_add_co_u32 v2, vcc_lo, v2, v4
	v_add_co_ci_u32_e32 v3, vcc_lo, v3, v5, vcc_lo
	global_load_b64 v[2:3], v[2:3], off
.LBB46_11:                              ;   in Loop: Header=BB46_7 Depth=2
	s_or_b32 exec_lo, exec_lo, s7
	s_waitcnt vmcnt(0)
	ds_store_b64 v13, v[2:3]
	s_waitcnt lgkmcnt(0)
	s_barrier
	buffer_gl0_inv
	s_and_saveexec_b32 s7, s2
	s_cbranch_execz .LBB46_6
; %bb.12:                               ;   in Loop: Header=BB46_7 Depth=2
	v_dual_mov_b32 v3, 0 :: v_dual_mov_b32 v2, v12
	v_mov_b32_e32 v4, 0
	s_mov_b32 s13, 0
.LBB46_13:                              ;   Parent Loop BB46_4 Depth=1
                                        ;     Parent Loop BB46_7 Depth=2
                                        ; =>    This Inner Loop Header: Depth=3
	s_delay_alu instid0(SALU_CYCLE_1)
	v_add_nc_u32_e32 v5, s13, v10
	ds_load_2addr_b64 v[19:22], v2 offset1:32
	ds_load_2addr_b64 v[23:26], v2 offset0:64 offset1:96
	ds_load_2addr_b64 v[27:30], v2 offset0:128 offset1:160
	;; [unrolled: 1-line block ×3, first 2 shown]
	ds_load_b128 v[35:38], v5
	ds_load_b128 v[39:42], v5 offset:16
	ds_load_b128 v[43:46], v5 offset:32
	;; [unrolled: 1-line block ×3, first 2 shown]
	v_add_nc_u32_e32 v2, 0x800, v2
	s_add_i32 s13, s13, 64
	s_delay_alu instid0(SALU_CYCLE_1)
	s_cmpk_eq_i32 s13, 0x100
	s_waitcnt lgkmcnt(3)
	v_mul_f32_e32 v6, v19, v36
	v_dual_mul_f32 v5, v20, v36 :: v_dual_mul_f32 v36, v21, v38
	s_waitcnt lgkmcnt(2)
	v_dual_mul_f32 v7, v22, v38 :: v_dual_mul_f32 v38, v24, v40
	v_dual_mul_f32 v40, v23, v40 :: v_dual_mul_f32 v51, v26, v42
	s_delay_alu instid0(VALU_DEP_3)
	v_fma_f32 v5, v19, v35, -v5
	v_mul_f32_e32 v42, v25, v42
	v_fmac_f32_e32 v6, v20, v35
	v_fma_f32 v7, v21, v37, -v7
	s_waitcnt lgkmcnt(1)
	v_dual_mul_f32 v52, v28, v44 :: v_dual_mul_f32 v19, v30, v46
	v_add_f32_e32 v3, v3, v5
	v_dual_mul_f32 v44, v27, v44 :: v_dual_mul_f32 v5, v29, v46
	v_fmac_f32_e32 v36, v22, v37
	v_add_f32_e32 v4, v4, v6
	v_fma_f32 v6, v23, v39, -v38
	v_add_f32_e32 v3, v3, v7
	v_dual_fmac_f32 v5, v30, v45 :: v_dual_fmac_f32 v40, v24, v39
	v_fma_f32 v20, v25, v41, -v51
	v_fma_f32 v21, v27, v43, -v52
	s_delay_alu instid0(VALU_DEP_4) | instskip(SKIP_3) | instid1(VALU_DEP_3)
	v_add_f32_e32 v3, v3, v6
	s_waitcnt lgkmcnt(0)
	v_dual_mul_f32 v7, v32, v48 :: v_dual_fmac_f32 v42, v26, v41
	v_fma_f32 v19, v29, v45, -v19
	v_add_f32_e32 v3, v3, v20
	v_add_f32_e32 v4, v4, v36
	s_delay_alu instid0(VALU_DEP_4) | instskip(NEXT) | instid1(VALU_DEP_2)
	v_fma_f32 v7, v31, v47, -v7
	v_dual_add_f32 v3, v3, v21 :: v_dual_add_f32 v4, v4, v40
	v_dual_mul_f32 v21, v33, v50 :: v_dual_mul_f32 v6, v31, v48
	s_delay_alu instid0(VALU_DEP_2) | instskip(SKIP_1) | instid1(VALU_DEP_3)
	v_dual_add_f32 v3, v3, v19 :: v_dual_add_f32 v4, v4, v42
	v_mul_f32_e32 v20, v34, v50
	v_dual_fmac_f32 v21, v34, v49 :: v_dual_fmac_f32 v6, v32, v47
	s_delay_alu instid0(VALU_DEP_3) | instskip(SKIP_1) | instid1(VALU_DEP_1)
	v_add_f32_e32 v3, v3, v7
	v_fmac_f32_e32 v44, v28, v43
	v_add_f32_e32 v4, v4, v44
	s_delay_alu instid0(VALU_DEP_1) | instskip(SKIP_1) | instid1(VALU_DEP_1)
	v_add_f32_e32 v4, v4, v5
	v_fma_f32 v5, v33, v49, -v20
	v_dual_add_f32 v4, v4, v6 :: v_dual_add_f32 v3, v3, v5
	s_delay_alu instid0(VALU_DEP_1)
	v_add_f32_e32 v4, v4, v21
	s_cbranch_scc0 .LBB46_13
; %bb.14:                               ;   in Loop: Header=BB46_7 Depth=2
	global_load_b64 v[5:6], v[0:1], off
	v_dual_mul_f32 v2, s25, v4 :: v_dual_mul_f32 v7, s25, v3
	s_delay_alu instid0(VALU_DEP_1) | instskip(SKIP_1) | instid1(VALU_DEP_1)
	v_fma_f32 v2, s24, v3, -v2
	s_waitcnt vmcnt(0)
	v_dual_fmac_f32 v7, s24, v4 :: v_dual_add_f32 v2, v2, v5
	s_delay_alu instid0(VALU_DEP_1)
	v_add_f32_e32 v3, v7, v6
	global_store_b64 v[0:1], v[2:3], off
	s_branch .LBB46_6
.LBB46_15:
	s_endpgm
	.section	.rodata,"a",@progbits
	.p2align	6, 0x0
	.amdhsa_kernel _ZL24rocblas_symm_hemm_kernelILb0ELb1ELi32EPK19rocblas_complex_numIfEPKS3_PKPS1_EvbiiT2_T3_lllSA_lllT4_llli
		.amdhsa_group_segment_fixed_size 16384
		.amdhsa_private_segment_fixed_size 0
		.amdhsa_kernarg_size 384
		.amdhsa_user_sgpr_count 13
		.amdhsa_user_sgpr_dispatch_ptr 0
		.amdhsa_user_sgpr_queue_ptr 0
		.amdhsa_user_sgpr_kernarg_segment_ptr 1
		.amdhsa_user_sgpr_dispatch_id 0
		.amdhsa_user_sgpr_private_segment_size 0
		.amdhsa_wavefront_size32 1
		.amdhsa_uses_dynamic_stack 0
		.amdhsa_enable_private_segment 0
		.amdhsa_system_sgpr_workgroup_id_x 1
		.amdhsa_system_sgpr_workgroup_id_y 1
		.amdhsa_system_sgpr_workgroup_id_z 1
		.amdhsa_system_sgpr_workgroup_info 0
		.amdhsa_system_vgpr_workitem_id 1
		.amdhsa_next_free_vgpr 53
		.amdhsa_next_free_sgpr 36
		.amdhsa_reserve_vcc 1
		.amdhsa_float_round_mode_32 0
		.amdhsa_float_round_mode_16_64 0
		.amdhsa_float_denorm_mode_32 3
		.amdhsa_float_denorm_mode_16_64 3
		.amdhsa_dx10_clamp 1
		.amdhsa_ieee_mode 1
		.amdhsa_fp16_overflow 0
		.amdhsa_workgroup_processor_mode 1
		.amdhsa_memory_ordered 1
		.amdhsa_forward_progress 0
		.amdhsa_shared_vgpr_count 0
		.amdhsa_exception_fp_ieee_invalid_op 0
		.amdhsa_exception_fp_denorm_src 0
		.amdhsa_exception_fp_ieee_div_zero 0
		.amdhsa_exception_fp_ieee_overflow 0
		.amdhsa_exception_fp_ieee_underflow 0
		.amdhsa_exception_fp_ieee_inexact 0
		.amdhsa_exception_int_div_zero 0
	.end_amdhsa_kernel
	.section	.text._ZL24rocblas_symm_hemm_kernelILb0ELb1ELi32EPK19rocblas_complex_numIfEPKS3_PKPS1_EvbiiT2_T3_lllSA_lllT4_llli,"axG",@progbits,_ZL24rocblas_symm_hemm_kernelILb0ELb1ELi32EPK19rocblas_complex_numIfEPKS3_PKPS1_EvbiiT2_T3_lllSA_lllT4_llli,comdat
.Lfunc_end46:
	.size	_ZL24rocblas_symm_hemm_kernelILb0ELb1ELi32EPK19rocblas_complex_numIfEPKS3_PKPS1_EvbiiT2_T3_lllSA_lllT4_llli, .Lfunc_end46-_ZL24rocblas_symm_hemm_kernelILb0ELb1ELi32EPK19rocblas_complex_numIfEPKS3_PKPS1_EvbiiT2_T3_lllSA_lllT4_llli
                                        ; -- End function
	.section	.AMDGPU.csdata,"",@progbits
; Kernel info:
; codeLenInByte = 1304
; NumSgprs: 38
; NumVgprs: 53
; ScratchSize: 0
; MemoryBound: 0
; FloatMode: 240
; IeeeMode: 1
; LDSByteSize: 16384 bytes/workgroup (compile time only)
; SGPRBlocks: 4
; VGPRBlocks: 6
; NumSGPRsForWavesPerEU: 38
; NumVGPRsForWavesPerEU: 53
; Occupancy: 16
; WaveLimiterHint : 1
; COMPUTE_PGM_RSRC2:SCRATCH_EN: 0
; COMPUTE_PGM_RSRC2:USER_SGPR: 13
; COMPUTE_PGM_RSRC2:TRAP_HANDLER: 0
; COMPUTE_PGM_RSRC2:TGID_X_EN: 1
; COMPUTE_PGM_RSRC2:TGID_Y_EN: 1
; COMPUTE_PGM_RSRC2:TGID_Z_EN: 1
; COMPUTE_PGM_RSRC2:TIDIG_COMP_CNT: 1
	.section	.text._ZL25rocblas_symm_scale_kernelILi128ELi8E19rocblas_complex_numIfEPKPS1_EviiT1_T2_llli,"axG",@progbits,_ZL25rocblas_symm_scale_kernelILi128ELi8E19rocblas_complex_numIfEPKPS1_EviiT1_T2_llli,comdat
	.globl	_ZL25rocblas_symm_scale_kernelILi128ELi8E19rocblas_complex_numIfEPKPS1_EviiT1_T2_llli ; -- Begin function _ZL25rocblas_symm_scale_kernelILi128ELi8E19rocblas_complex_numIfEPKPS1_EviiT1_T2_llli
	.p2align	8
	.type	_ZL25rocblas_symm_scale_kernelILi128ELi8E19rocblas_complex_numIfEPKPS1_EviiT1_T2_llli,@function
_ZL25rocblas_symm_scale_kernelILi128ELi8E19rocblas_complex_numIfEPKPS1_EviiT1_T2_llli: ; @_ZL25rocblas_symm_scale_kernelILi128ELi8E19rocblas_complex_numIfEPKPS1_EviiT1_T2_llli
; %bb.0:
	s_load_b128 s[4:7], s[0:1], 0x0
	s_waitcnt lgkmcnt(0)
	v_cmp_eq_f32_e64 s2, s6, 1.0
	v_cmp_eq_f32_e64 s3, s7, 0
	s_delay_alu instid0(VALU_DEP_1) | instskip(NEXT) | instid1(SALU_CYCLE_1)
	s_and_b32 s2, s2, s3
	s_and_b32 vcc_lo, exec_lo, s2
	s_cbranch_vccnz .LBB47_6
; %bb.1:
	v_bfe_u32 v1, v0, 10, 10
	v_and_b32_e32 v2, 0x3ff, v0
	s_ashr_i32 s11, s5, 31
	s_mov_b32 s10, s5
	s_delay_alu instid0(VALU_DEP_2) | instskip(SKIP_2) | instid1(VALU_DEP_2)
	v_lshl_add_u32 v0, s14, 3, v1
	v_mov_b32_e32 v1, 0
	v_lshl_add_u32 v2, s13, 7, v2
	v_cmp_gt_i64_e32 vcc_lo, s[10:11], v[0:1]
	s_delay_alu instid0(VALU_DEP_2) | instskip(NEXT) | instid1(VALU_DEP_1)
	v_cmp_gt_u32_e64 s2, s4, v2
	s_and_b32 s2, s2, vcc_lo
	s_delay_alu instid0(SALU_CYCLE_1)
	s_and_saveexec_b32 s3, s2
	s_cbranch_execz .LBB47_6
; %bb.2:
	s_mov_b32 s8, s15
	s_clause 0x1
	s_load_b64 s[2:3], s[0:1], 0x20
	s_load_b128 s[12:15], s[0:1], 0x10
	s_mov_b32 s9, 0
	s_load_b32 s4, s[0:1], 0x3c
	s_lshl_b64 s[0:1], s[8:9], 3
	s_waitcnt lgkmcnt(0)
	v_mad_u64_u32 v[4:5], null, s2, v0, 0
	s_add_u32 s0, s12, s0
	s_addc_u32 s1, s13, s1
	s_or_b32 s5, s6, s7
	s_load_b64 s[12:13], s[0:1], 0x0
	s_bitset0_b32 s5, 31
	s_delay_alu instid0(VALU_DEP_1) | instskip(SKIP_3) | instid1(VALU_DEP_1)
	v_mov_b32_e32 v3, v5
	s_cmp_lg_u32 s5, 0
	s_cselect_b32 s1, -1, 0
	s_lshl_b64 s[14:15], s[14:15], 3
	v_mad_u64_u32 v[5:6], null, s3, v0, v[3:4]
	v_mov_b32_e32 v3, v1
	s_lshl_b32 s4, s4, 3
	s_delay_alu instid0(SALU_CYCLE_1) | instskip(SKIP_1) | instid1(VALU_DEP_1)
	s_mul_i32 s0, s3, s4
	s_mul_hi_u32 s3, s2, s4
	v_lshlrev_b64 v[2:3], 3, v[2:3]
	s_delay_alu instid0(VALU_DEP_3) | instskip(SKIP_2) | instid1(SALU_CYCLE_1)
	v_lshlrev_b64 v[4:5], 3, v[4:5]
	s_add_i32 s3, s3, s0
	s_mul_i32 s2, s2, s4
	s_lshl_b64 s[2:3], s[2:3], 3
	s_delay_alu instid0(VALU_DEP_1) | instskip(NEXT) | instid1(VALU_DEP_2)
	v_add_co_u32 v4, vcc_lo, v4, s14
	v_add_co_ci_u32_e32 v5, vcc_lo, s15, v5, vcc_lo
	s_delay_alu instid0(VALU_DEP_2) | instskip(NEXT) | instid1(VALU_DEP_2)
	v_add_co_u32 v2, vcc_lo, v4, v2
	v_add_co_ci_u32_e32 v3, vcc_lo, v5, v3, vcc_lo
	s_waitcnt lgkmcnt(0)
	s_delay_alu instid0(VALU_DEP_2) | instskip(NEXT) | instid1(VALU_DEP_2)
	v_add_co_u32 v2, vcc_lo, v2, s12
	v_add_co_ci_u32_e32 v3, vcc_lo, s13, v3, vcc_lo
	s_delay_alu instid0(VALU_DEP_2) | instskip(NEXT) | instid1(VALU_DEP_2)
	v_add_co_u32 v2, vcc_lo, v2, 4
	v_add_co_ci_u32_e32 v3, vcc_lo, 0, v3, vcc_lo
	s_set_inst_prefetch_distance 0x1
	s_branch .LBB47_4
	.p2align	6
.LBB47_3:                               ;   in Loop: Header=BB47_4 Depth=1
	v_add_co_u32 v0, vcc_lo, v0, s4
	v_add_co_ci_u32_e32 v1, vcc_lo, 0, v1, vcc_lo
	global_store_b64 v[2:3], v[4:5], off offset:-4
	v_add_co_u32 v2, s0, v2, s2
	v_cmp_le_i64_e32 vcc_lo, s[10:11], v[0:1]
	v_add_co_ci_u32_e64 v3, s0, s3, v3, s0
	s_or_b32 s9, vcc_lo, s9
	s_delay_alu instid0(SALU_CYCLE_1)
	s_and_not1_b32 exec_lo, exec_lo, s9
	s_cbranch_execz .LBB47_6
.LBB47_4:                               ; =>This Inner Loop Header: Depth=1
	v_dual_mov_b32 v5, 0 :: v_dual_mov_b32 v4, 0
	s_and_not1_b32 vcc_lo, exec_lo, s1
	s_cbranch_vccnz .LBB47_3
; %bb.5:                                ;   in Loop: Header=BB47_4 Depth=1
	global_load_b64 v[6:7], v[2:3], off offset:-4
	s_waitcnt vmcnt(0)
	v_mul_f32_e32 v5, s6, v7
	s_delay_alu instid0(VALU_DEP_1) | instskip(NEXT) | instid1(VALU_DEP_1)
	v_dual_mul_f32 v4, s7, v7 :: v_dual_fmac_f32 v5, s7, v6
	v_fma_f32 v4, v6, s6, -v4
	s_branch .LBB47_3
.LBB47_6:
	s_set_inst_prefetch_distance 0x2
	s_nop 0
	s_sendmsg sendmsg(MSG_DEALLOC_VGPRS)
	s_endpgm
	.section	.rodata,"a",@progbits
	.p2align	6, 0x0
	.amdhsa_kernel _ZL25rocblas_symm_scale_kernelILi128ELi8E19rocblas_complex_numIfEPKPS1_EviiT1_T2_llli
		.amdhsa_group_segment_fixed_size 0
		.amdhsa_private_segment_fixed_size 0
		.amdhsa_kernarg_size 312
		.amdhsa_user_sgpr_count 13
		.amdhsa_user_sgpr_dispatch_ptr 0
		.amdhsa_user_sgpr_queue_ptr 0
		.amdhsa_user_sgpr_kernarg_segment_ptr 1
		.amdhsa_user_sgpr_dispatch_id 0
		.amdhsa_user_sgpr_private_segment_size 0
		.amdhsa_wavefront_size32 1
		.amdhsa_uses_dynamic_stack 0
		.amdhsa_enable_private_segment 0
		.amdhsa_system_sgpr_workgroup_id_x 1
		.amdhsa_system_sgpr_workgroup_id_y 1
		.amdhsa_system_sgpr_workgroup_id_z 1
		.amdhsa_system_sgpr_workgroup_info 0
		.amdhsa_system_vgpr_workitem_id 1
		.amdhsa_next_free_vgpr 8
		.amdhsa_next_free_sgpr 16
		.amdhsa_reserve_vcc 1
		.amdhsa_float_round_mode_32 0
		.amdhsa_float_round_mode_16_64 0
		.amdhsa_float_denorm_mode_32 3
		.amdhsa_float_denorm_mode_16_64 3
		.amdhsa_dx10_clamp 1
		.amdhsa_ieee_mode 1
		.amdhsa_fp16_overflow 0
		.amdhsa_workgroup_processor_mode 1
		.amdhsa_memory_ordered 1
		.amdhsa_forward_progress 0
		.amdhsa_shared_vgpr_count 0
		.amdhsa_exception_fp_ieee_invalid_op 0
		.amdhsa_exception_fp_denorm_src 0
		.amdhsa_exception_fp_ieee_div_zero 0
		.amdhsa_exception_fp_ieee_overflow 0
		.amdhsa_exception_fp_ieee_underflow 0
		.amdhsa_exception_fp_ieee_inexact 0
		.amdhsa_exception_int_div_zero 0
	.end_amdhsa_kernel
	.section	.text._ZL25rocblas_symm_scale_kernelILi128ELi8E19rocblas_complex_numIfEPKPS1_EviiT1_T2_llli,"axG",@progbits,_ZL25rocblas_symm_scale_kernelILi128ELi8E19rocblas_complex_numIfEPKPS1_EviiT1_T2_llli,comdat
.Lfunc_end47:
	.size	_ZL25rocblas_symm_scale_kernelILi128ELi8E19rocblas_complex_numIfEPKPS1_EviiT1_T2_llli, .Lfunc_end47-_ZL25rocblas_symm_scale_kernelILi128ELi8E19rocblas_complex_numIfEPKPS1_EviiT1_T2_llli
                                        ; -- End function
	.section	.AMDGPU.csdata,"",@progbits
; Kernel info:
; codeLenInByte = 484
; NumSgprs: 18
; NumVgprs: 8
; ScratchSize: 0
; MemoryBound: 0
; FloatMode: 240
; IeeeMode: 1
; LDSByteSize: 0 bytes/workgroup (compile time only)
; SGPRBlocks: 2
; VGPRBlocks: 0
; NumSGPRsForWavesPerEU: 18
; NumVGPRsForWavesPerEU: 8
; Occupancy: 16
; WaveLimiterHint : 0
; COMPUTE_PGM_RSRC2:SCRATCH_EN: 0
; COMPUTE_PGM_RSRC2:USER_SGPR: 13
; COMPUTE_PGM_RSRC2:TRAP_HANDLER: 0
; COMPUTE_PGM_RSRC2:TGID_X_EN: 1
; COMPUTE_PGM_RSRC2:TGID_Y_EN: 1
; COMPUTE_PGM_RSRC2:TGID_Z_EN: 1
; COMPUTE_PGM_RSRC2:TIDIG_COMP_CNT: 1
	.section	.text._ZL24rocblas_symm_hemm_kernelILb0ELb0ELi32E19rocblas_complex_numIfEPKPKS1_PKPS1_EvbiiT2_T3_lllSA_lllT4_llli,"axG",@progbits,_ZL24rocblas_symm_hemm_kernelILb0ELb0ELi32E19rocblas_complex_numIfEPKPKS1_PKPS1_EvbiiT2_T3_lllSA_lllT4_llli,comdat
	.globl	_ZL24rocblas_symm_hemm_kernelILb0ELb0ELi32E19rocblas_complex_numIfEPKPKS1_PKPS1_EvbiiT2_T3_lllSA_lllT4_llli ; -- Begin function _ZL24rocblas_symm_hemm_kernelILb0ELb0ELi32E19rocblas_complex_numIfEPKPKS1_PKPS1_EvbiiT2_T3_lllSA_lllT4_llli
	.p2align	8
	.type	_ZL24rocblas_symm_hemm_kernelILb0ELb0ELi32E19rocblas_complex_numIfEPKPKS1_PKPS1_EvbiiT2_T3_lllSA_lllT4_llli,@function
_ZL24rocblas_symm_hemm_kernelILb0ELb0ELi32E19rocblas_complex_numIfEPKPKS1_PKPS1_EvbiiT2_T3_lllSA_lllT4_llli: ; @_ZL24rocblas_symm_hemm_kernelILb0ELb0ELi32E19rocblas_complex_numIfEPKPKS1_PKPS1_EvbiiT2_T3_lllSA_lllT4_llli
; %bb.0:
	s_mov_b32 s2, s15
	s_clause 0x1
	s_load_b128 s[4:7], s[0:1], 0x0
	s_load_b32 s15, s[0:1], 0x10
	s_waitcnt lgkmcnt(0)
	v_cmp_eq_f32_e64 s3, s7, 0
	v_cmp_eq_f32_e64 s8, s15, 0
	s_delay_alu instid0(VALU_DEP_1) | instskip(NEXT) | instid1(SALU_CYCLE_1)
	s_and_b32 s3, s3, s8
	s_and_b32 vcc_lo, exec_lo, s3
	s_cbranch_vccnz .LBB48_15
; %bb.1:
	s_add_i32 s3, s6, -1
	s_delay_alu instid0(SALU_CYCLE_1) | instskip(NEXT) | instid1(SALU_CYCLE_1)
	s_ashr_i32 s8, s3, 31
	s_lshr_b32 s8, s8, 27
	s_delay_alu instid0(SALU_CYCLE_1) | instskip(NEXT) | instid1(SALU_CYCLE_1)
	s_add_i32 s3, s3, s8
	s_ashr_i32 s16, s3, 5
	s_delay_alu instid0(SALU_CYCLE_1)
	s_cmp_gt_i32 s14, s16
	s_cbranch_scc1 .LBB48_15
; %bb.2:
	s_clause 0x1
	s_load_b128 s[20:23], s[0:1], 0x18
	s_load_b64 s[8:9], s[0:1], 0x28
	s_mov_b32 s3, 0
	v_and_b32_e32 v9, 0x3ff, v0
	s_lshl_b64 s[28:29], s[2:3], 3
	v_bfe_u32 v10, v0, 10, 10
	s_load_b64 s[10:11], s[0:1], 0x48
	s_delay_alu instid0(VALU_DEP_2) | instskip(SKIP_1) | instid1(VALU_DEP_3)
	v_lshl_add_u32 v0, s13, 5, v9
	v_lshlrev_b32_e32 v11, 8, v9
	v_lshlrev_b32_e32 v2, 3, v10
	s_delay_alu instid0(VALU_DEP_3) | instskip(NEXT) | instid1(VALU_DEP_2)
	v_ashrrev_i32_e32 v1, 31, v0
	v_add_nc_u32_e32 v12, v11, v2
	v_or_b32_e32 v13, 0x2000, v2
	s_delay_alu instid0(VALU_DEP_3)
	v_lshlrev_b64 v[1:2], 3, v[0:1]
	s_waitcnt lgkmcnt(0)
	s_add_u32 s2, s20, s28
	s_addc_u32 s3, s21, s29
	s_lshl_b64 s[20:21], s[22:23], 3
	s_load_b64 s[18:19], s[2:3], 0x0
	s_load_b128 s[24:27], s[0:1], 0x38
	v_add_nc_u32_e32 v14, v13, v11
	s_waitcnt lgkmcnt(0)
	s_add_u32 s3, s18, s20
	s_addc_u32 s17, s19, s21
	s_add_u32 s18, s24, s28
	s_addc_u32 s19, s25, s29
	s_lshl_b64 s[24:25], s[26:27], 3
	s_load_b64 s[18:19], s[18:19], 0x0
	s_load_b128 s[20:23], s[0:1], 0x58
	s_waitcnt lgkmcnt(0)
	s_add_u32 s18, s18, s24
	s_addc_u32 s19, s19, s25
	s_add_u32 s20, s20, s28
	s_addc_u32 s21, s21, s29
	s_bitcmp1_b32 s4, 0
	s_load_b64 s[24:25], s[20:21], 0x0
	s_clause 0x1
	s_load_b64 s[12:13], s[0:1], 0x68
	s_load_b32 s20, s[0:1], 0x84
	s_cselect_b32 s1, -1, 0
	s_lshl_b64 s[22:23], s[22:23], 3
	v_cmp_gt_i32_e64 s0, s5, v0
	s_waitcnt lgkmcnt(0)
	s_add_u32 s2, s24, s22
	s_addc_u32 s4, s25, s23
	v_add_co_u32 v15, vcc_lo, s2, v1
	v_add_co_ci_u32_e32 v16, vcc_lo, s4, v2, vcc_lo
	s_cmp_gt_i32 s5, 0
	s_cselect_b32 s4, -1, 0
	s_branch .LBB48_4
.LBB48_3:                               ;   in Loop: Header=BB48_4 Depth=1
	s_add_i32 s14, s14, s20
	s_delay_alu instid0(SALU_CYCLE_1)
	s_cmp_gt_i32 s14, s16
	s_cbranch_scc1 .LBB48_15
.LBB48_4:                               ; =>This Loop Header: Depth=1
                                        ;     Child Loop BB48_7 Depth 2
                                        ;       Child Loop BB48_13 Depth 3
	s_and_not1_b32 vcc_lo, exec_lo, s4
	s_cbranch_vccnz .LBB48_3
; %bb.5:                                ;   in Loop: Header=BB48_4 Depth=1
	v_lshl_add_u32 v5, s14, 5, v10
	s_mov_b32 s22, 0
	s_delay_alu instid0(VALU_DEP_1) | instskip(SKIP_3) | instid1(VALU_DEP_4)
	v_ashrrev_i32_e32 v6, 31, v5
	v_mul_lo_u32 v7, v5, s11
	v_mad_u64_u32 v[1:2], null, v5, s10, 0
	v_mul_lo_u32 v17, v5, s13
	v_mul_lo_u32 v8, v6, s10
	v_mad_u64_u32 v[3:4], null, v5, s12, 0
	v_mul_lo_u32 v6, v6, s12
	v_cmp_gt_i32_e32 vcc_lo, s6, v5
	s_delay_alu instid0(VALU_DEP_4) | instskip(SKIP_1) | instid1(VALU_DEP_3)
	v_add3_u32 v2, v2, v7, v8
	s_and_b32 s21, s0, vcc_lo
	v_add3_u32 v4, v4, v17, v6
	s_delay_alu instid0(VALU_DEP_2) | instskip(NEXT) | instid1(VALU_DEP_2)
	v_lshlrev_b64 v[1:2], 3, v[1:2]
	v_lshlrev_b64 v[3:4], 3, v[3:4]
	s_delay_alu instid0(VALU_DEP_2) | instskip(NEXT) | instid1(VALU_DEP_1)
	v_add_co_u32 v17, s2, s18, v1
	v_add_co_ci_u32_e64 v18, s2, s19, v2, s2
	s_delay_alu instid0(VALU_DEP_3) | instskip(NEXT) | instid1(VALU_DEP_1)
	v_add_co_u32 v1, s2, v15, v3
	v_add_co_ci_u32_e64 v2, s2, v16, v4, s2
	s_branch .LBB48_7
.LBB48_6:                               ;   in Loop: Header=BB48_7 Depth=2
	s_or_b32 exec_lo, exec_lo, s2
	s_add_i32 s22, s22, 32
	s_waitcnt_vscnt null, 0x0
	s_cmp_ge_i32 s22, s5
	s_barrier
	buffer_gl0_inv
	s_cbranch_scc1 .LBB48_3
.LBB48_7:                               ;   Parent Loop BB48_4 Depth=1
                                        ; =>  This Loop Header: Depth=2
                                        ;       Child Loop BB48_13 Depth 3
	v_add_nc_u32_e32 v3, s22, v10
	s_delay_alu instid0(VALU_DEP_1) | instskip(SKIP_1) | instid1(VALU_DEP_1)
	v_cndmask_b32_e64 v4, v3, v0, s1
	v_cndmask_b32_e64 v5, v0, v3, s1
	v_cmp_gt_i32_e64 s2, v4, v5
	v_mov_b32_e32 v5, 0
	s_delay_alu instid0(VALU_DEP_2) | instskip(SKIP_2) | instid1(VALU_DEP_2)
	v_cndmask_b32_e64 v4, v0, v3, s2
	v_cndmask_b32_e64 v7, v3, v0, s2
	v_mov_b32_e32 v3, 0
	v_max_i32_e32 v6, v4, v7
	s_delay_alu instid0(VALU_DEP_1) | instskip(SKIP_1) | instid1(VALU_DEP_2)
	v_cmp_gt_i32_e64 s2, s5, v6
	v_mov_b32_e32 v6, 0
	s_and_saveexec_b32 s23, s2
	s_cbranch_execz .LBB48_9
; %bb.8:                                ;   in Loop: Header=BB48_7 Depth=2
	v_ashrrev_i32_e32 v5, 31, v7
	v_mul_lo_u32 v6, v7, s9
	v_mad_u64_u32 v[19:20], null, v7, s8, 0
	s_delay_alu instid0(VALU_DEP_3) | instskip(NEXT) | instid1(VALU_DEP_1)
	v_mul_lo_u32 v5, v5, s8
	v_add3_u32 v20, v20, v6, v5
	v_ashrrev_i32_e32 v5, 31, v4
	s_delay_alu instid0(VALU_DEP_2) | instskip(NEXT) | instid1(VALU_DEP_2)
	v_lshlrev_b64 v[6:7], 3, v[19:20]
	v_lshlrev_b64 v[4:5], 3, v[4:5]
	s_delay_alu instid0(VALU_DEP_2) | instskip(NEXT) | instid1(VALU_DEP_1)
	v_add_co_u32 v6, s2, s3, v6
	v_add_co_ci_u32_e64 v7, s2, s17, v7, s2
	s_delay_alu instid0(VALU_DEP_2) | instskip(NEXT) | instid1(VALU_DEP_1)
	v_add_co_u32 v4, s2, v6, v4
	v_add_co_ci_u32_e64 v5, s2, v7, v5, s2
	global_load_b64 v[5:6], v[4:5], off
.LBB48_9:                               ;   in Loop: Header=BB48_7 Depth=2
	s_or_b32 exec_lo, exec_lo, s23
	v_dual_mov_b32 v4, 0 :: v_dual_add_nc_u32 v7, s22, v9
	s_waitcnt vmcnt(0)
	ds_store_b64 v12, v[5:6]
	v_cmp_gt_i32_e64 s2, s5, v7
	s_delay_alu instid0(VALU_DEP_1) | instskip(NEXT) | instid1(SALU_CYCLE_1)
	s_and_b32 s2, s2, vcc_lo
	s_and_saveexec_b32 s23, s2
	s_cbranch_execz .LBB48_11
; %bb.10:                               ;   in Loop: Header=BB48_7 Depth=2
	v_ashrrev_i32_e32 v8, 31, v7
	s_delay_alu instid0(VALU_DEP_1) | instskip(NEXT) | instid1(VALU_DEP_1)
	v_lshlrev_b64 v[3:4], 3, v[7:8]
	v_add_co_u32 v3, s2, v17, v3
	s_delay_alu instid0(VALU_DEP_1)
	v_add_co_ci_u32_e64 v4, s2, v18, v4, s2
	global_load_b64 v[3:4], v[3:4], off
.LBB48_11:                              ;   in Loop: Header=BB48_7 Depth=2
	s_or_b32 exec_lo, exec_lo, s23
	s_waitcnt vmcnt(0)
	ds_store_b64 v14, v[3:4]
	s_waitcnt lgkmcnt(0)
	s_barrier
	buffer_gl0_inv
	s_and_saveexec_b32 s2, s21
	s_cbranch_execz .LBB48_6
; %bb.12:                               ;   in Loop: Header=BB48_7 Depth=2
	v_dual_mov_b32 v4, 0 :: v_dual_mov_b32 v3, v13
	v_mov_b32_e32 v5, 0
	s_mov_b32 s23, 0
.LBB48_13:                              ;   Parent Loop BB48_4 Depth=1
                                        ;     Parent Loop BB48_7 Depth=2
                                        ; =>    This Inner Loop Header: Depth=3
	s_delay_alu instid0(SALU_CYCLE_1)
	v_add_nc_u32_e32 v6, s23, v11
	ds_load_2addr_b64 v[19:22], v3 offset1:32
	ds_load_2addr_b64 v[23:26], v3 offset0:64 offset1:96
	ds_load_2addr_b64 v[27:30], v3 offset0:128 offset1:160
	;; [unrolled: 1-line block ×3, first 2 shown]
	ds_load_b128 v[35:38], v6
	ds_load_b128 v[39:42], v6 offset:16
	ds_load_b128 v[43:46], v6 offset:32
	;; [unrolled: 1-line block ×3, first 2 shown]
	s_add_i32 s23, s23, 64
	v_add_nc_u32_e32 v3, 0x800, v3
	s_cmpk_eq_i32 s23, 0x100
	s_waitcnt lgkmcnt(3)
	v_mul_f32_e32 v7, v19, v36
	s_waitcnt lgkmcnt(2)
	v_dual_mul_f32 v6, v20, v36 :: v_dual_mul_f32 v51, v26, v42
	v_mul_f32_e32 v8, v22, v38
	s_delay_alu instid0(VALU_DEP_3) | instskip(NEXT) | instid1(VALU_DEP_3)
	v_dual_mul_f32 v36, v21, v38 :: v_dual_fmac_f32 v7, v20, v35
	v_fma_f32 v6, v19, v35, -v6
	s_waitcnt lgkmcnt(1)
	v_dual_mul_f32 v38, v24, v40 :: v_dual_mul_f32 v19, v30, v46
	s_delay_alu instid0(VALU_DEP_3) | instskip(SKIP_2) | instid1(VALU_DEP_4)
	v_dual_mul_f32 v40, v23, v40 :: v_dual_add_f32 v5, v5, v7
	v_fma_f32 v8, v21, v37, -v8
	v_add_f32_e32 v4, v4, v6
	v_fma_f32 v7, v23, v39, -v38
	s_delay_alu instid0(VALU_DEP_4) | instskip(SKIP_4) | instid1(VALU_DEP_1)
	v_fmac_f32_e32 v40, v24, v39
	v_fma_f32 v20, v25, v41, -v51
	v_fma_f32 v19, v29, v45, -v19
	v_add_f32_e32 v4, v4, v8
	s_waitcnt lgkmcnt(0)
	v_dual_add_f32 v4, v4, v7 :: v_dual_mul_f32 v7, v31, v48
	v_fmac_f32_e32 v36, v22, v37
	v_mul_f32_e32 v42, v25, v42
	s_delay_alu instid0(VALU_DEP_3) | instskip(NEXT) | instid1(VALU_DEP_4)
	v_add_f32_e32 v4, v4, v20
	v_fmac_f32_e32 v7, v32, v47
	s_delay_alu instid0(VALU_DEP_3) | instskip(NEXT) | instid1(VALU_DEP_1)
	v_dual_add_f32 v5, v5, v36 :: v_dual_fmac_f32 v42, v26, v41
	v_dual_mul_f32 v20, v34, v50 :: v_dual_add_f32 v5, v5, v40
	v_mul_f32_e32 v52, v28, v44
	s_delay_alu instid0(VALU_DEP_2) | instskip(NEXT) | instid1(VALU_DEP_2)
	v_dual_mul_f32 v44, v27, v44 :: v_dual_add_f32 v5, v5, v42
	v_fma_f32 v21, v27, v43, -v52
	s_delay_alu instid0(VALU_DEP_1) | instskip(SKIP_1) | instid1(VALU_DEP_4)
	v_dual_add_f32 v4, v4, v21 :: v_dual_mul_f32 v21, v33, v50
	v_mul_f32_e32 v6, v29, v46
	v_fmac_f32_e32 v44, v28, v43
	s_delay_alu instid0(VALU_DEP_3) | instskip(NEXT) | instid1(VALU_DEP_2)
	v_dual_add_f32 v4, v4, v19 :: v_dual_fmac_f32 v21, v34, v49
	v_dual_fmac_f32 v6, v30, v45 :: v_dual_add_f32 v5, v5, v44
	s_delay_alu instid0(VALU_DEP_1) | instskip(SKIP_1) | instid1(VALU_DEP_2)
	v_dual_add_f32 v5, v5, v6 :: v_dual_mul_f32 v8, v32, v48
	v_fma_f32 v6, v33, v49, -v20
	v_add_f32_e32 v5, v5, v7
	s_delay_alu instid0(VALU_DEP_3) | instskip(NEXT) | instid1(VALU_DEP_1)
	v_fma_f32 v8, v31, v47, -v8
	v_dual_add_f32 v5, v5, v21 :: v_dual_add_f32 v4, v4, v8
	s_delay_alu instid0(VALU_DEP_1)
	v_add_f32_e32 v4, v4, v6
	s_cbranch_scc0 .LBB48_13
; %bb.14:                               ;   in Loop: Header=BB48_7 Depth=2
	global_load_b64 v[6:7], v[1:2], off
	v_dual_mul_f32 v3, s15, v5 :: v_dual_mul_f32 v8, s15, v4
	s_delay_alu instid0(VALU_DEP_1) | instskip(SKIP_1) | instid1(VALU_DEP_1)
	v_fma_f32 v3, s7, v4, -v3
	s_waitcnt vmcnt(0)
	v_dual_fmac_f32 v8, s7, v5 :: v_dual_add_f32 v3, v3, v6
	s_delay_alu instid0(VALU_DEP_1)
	v_add_f32_e32 v4, v8, v7
	global_store_b64 v[1:2], v[3:4], off
	s_branch .LBB48_6
.LBB48_15:
	s_endpgm
	.section	.rodata,"a",@progbits
	.p2align	6, 0x0
	.amdhsa_kernel _ZL24rocblas_symm_hemm_kernelILb0ELb0ELi32E19rocblas_complex_numIfEPKPKS1_PKPS1_EvbiiT2_T3_lllSA_lllT4_llli
		.amdhsa_group_segment_fixed_size 16384
		.amdhsa_private_segment_fixed_size 0
		.amdhsa_kernarg_size 384
		.amdhsa_user_sgpr_count 13
		.amdhsa_user_sgpr_dispatch_ptr 0
		.amdhsa_user_sgpr_queue_ptr 0
		.amdhsa_user_sgpr_kernarg_segment_ptr 1
		.amdhsa_user_sgpr_dispatch_id 0
		.amdhsa_user_sgpr_private_segment_size 0
		.amdhsa_wavefront_size32 1
		.amdhsa_uses_dynamic_stack 0
		.amdhsa_enable_private_segment 0
		.amdhsa_system_sgpr_workgroup_id_x 1
		.amdhsa_system_sgpr_workgroup_id_y 1
		.amdhsa_system_sgpr_workgroup_id_z 1
		.amdhsa_system_sgpr_workgroup_info 0
		.amdhsa_system_vgpr_workitem_id 1
		.amdhsa_next_free_vgpr 53
		.amdhsa_next_free_sgpr 30
		.amdhsa_reserve_vcc 1
		.amdhsa_float_round_mode_32 0
		.amdhsa_float_round_mode_16_64 0
		.amdhsa_float_denorm_mode_32 3
		.amdhsa_float_denorm_mode_16_64 3
		.amdhsa_dx10_clamp 1
		.amdhsa_ieee_mode 1
		.amdhsa_fp16_overflow 0
		.amdhsa_workgroup_processor_mode 1
		.amdhsa_memory_ordered 1
		.amdhsa_forward_progress 0
		.amdhsa_shared_vgpr_count 0
		.amdhsa_exception_fp_ieee_invalid_op 0
		.amdhsa_exception_fp_denorm_src 0
		.amdhsa_exception_fp_ieee_div_zero 0
		.amdhsa_exception_fp_ieee_overflow 0
		.amdhsa_exception_fp_ieee_underflow 0
		.amdhsa_exception_fp_ieee_inexact 0
		.amdhsa_exception_int_div_zero 0
	.end_amdhsa_kernel
	.section	.text._ZL24rocblas_symm_hemm_kernelILb0ELb0ELi32E19rocblas_complex_numIfEPKPKS1_PKPS1_EvbiiT2_T3_lllSA_lllT4_llli,"axG",@progbits,_ZL24rocblas_symm_hemm_kernelILb0ELb0ELi32E19rocblas_complex_numIfEPKPKS1_PKPS1_EvbiiT2_T3_lllSA_lllT4_llli,comdat
.Lfunc_end48:
	.size	_ZL24rocblas_symm_hemm_kernelILb0ELb0ELi32E19rocblas_complex_numIfEPKPKS1_PKPS1_EvbiiT2_T3_lllSA_lllT4_llli, .Lfunc_end48-_ZL24rocblas_symm_hemm_kernelILb0ELb0ELi32E19rocblas_complex_numIfEPKPKS1_PKPS1_EvbiiT2_T3_lllSA_lllT4_llli
                                        ; -- End function
	.section	.AMDGPU.csdata,"",@progbits
; Kernel info:
; codeLenInByte = 1388
; NumSgprs: 32
; NumVgprs: 53
; ScratchSize: 0
; MemoryBound: 0
; FloatMode: 240
; IeeeMode: 1
; LDSByteSize: 16384 bytes/workgroup (compile time only)
; SGPRBlocks: 3
; VGPRBlocks: 6
; NumSGPRsForWavesPerEU: 32
; NumVGPRsForWavesPerEU: 53
; Occupancy: 16
; WaveLimiterHint : 1
; COMPUTE_PGM_RSRC2:SCRATCH_EN: 0
; COMPUTE_PGM_RSRC2:USER_SGPR: 13
; COMPUTE_PGM_RSRC2:TRAP_HANDLER: 0
; COMPUTE_PGM_RSRC2:TGID_X_EN: 1
; COMPUTE_PGM_RSRC2:TGID_Y_EN: 1
; COMPUTE_PGM_RSRC2:TGID_Z_EN: 1
; COMPUTE_PGM_RSRC2:TIDIG_COMP_CNT: 1
	.section	.text._ZL24rocblas_symm_hemm_kernelILb0ELb1ELi32E19rocblas_complex_numIfEPKPKS1_PKPS1_EvbiiT2_T3_lllSA_lllT4_llli,"axG",@progbits,_ZL24rocblas_symm_hemm_kernelILb0ELb1ELi32E19rocblas_complex_numIfEPKPKS1_PKPS1_EvbiiT2_T3_lllSA_lllT4_llli,comdat
	.globl	_ZL24rocblas_symm_hemm_kernelILb0ELb1ELi32E19rocblas_complex_numIfEPKPKS1_PKPS1_EvbiiT2_T3_lllSA_lllT4_llli ; -- Begin function _ZL24rocblas_symm_hemm_kernelILb0ELb1ELi32E19rocblas_complex_numIfEPKPKS1_PKPS1_EvbiiT2_T3_lllSA_lllT4_llli
	.p2align	8
	.type	_ZL24rocblas_symm_hemm_kernelILb0ELb1ELi32E19rocblas_complex_numIfEPKPKS1_PKPS1_EvbiiT2_T3_lllSA_lllT4_llli,@function
_ZL24rocblas_symm_hemm_kernelILb0ELb1ELi32E19rocblas_complex_numIfEPKPKS1_PKPS1_EvbiiT2_T3_lllSA_lllT4_llli: ; @_ZL24rocblas_symm_hemm_kernelILb0ELb1ELi32E19rocblas_complex_numIfEPKPKS1_PKPS1_EvbiiT2_T3_lllSA_lllT4_llli
; %bb.0:
	s_clause 0x1
	s_load_b128 s[4:7], s[0:1], 0x0
	s_load_b32 s12, s[0:1], 0x10
	s_waitcnt lgkmcnt(0)
	v_cmp_eq_f32_e64 s3, s7, 0
	v_cmp_eq_f32_e64 s8, s12, 0
	s_delay_alu instid0(VALU_DEP_1) | instskip(NEXT) | instid1(SALU_CYCLE_1)
	s_and_b32 s3, s3, s8
	s_and_b32 vcc_lo, exec_lo, s3
	s_cbranch_vccnz .LBB49_15
; %bb.1:
	s_add_i32 s3, s6, -1
	s_mov_b32 s2, s15
	s_ashr_i32 s8, s3, 31
	s_delay_alu instid0(SALU_CYCLE_1) | instskip(NEXT) | instid1(SALU_CYCLE_1)
	s_lshr_b32 s8, s8, 27
	s_add_i32 s3, s3, s8
	s_delay_alu instid0(SALU_CYCLE_1) | instskip(NEXT) | instid1(SALU_CYCLE_1)
	s_ashr_i32 s15, s3, 5
	s_cmp_gt_i32 s14, s15
	s_cbranch_scc1 .LBB49_15
; %bb.2:
	s_clause 0x1
	s_load_b128 s[24:27], s[0:1], 0x18
	s_load_b64 s[20:21], s[0:1], 0x28
	s_mov_b32 s3, 0
	v_and_b32_e32 v8, 0x3ff, v0
	s_lshl_b64 s[28:29], s[2:3], 3
	v_bfe_u32 v9, v0, 10, 10
	s_load_b64 s[22:23], s[0:1], 0x48
	s_delay_alu instid0(VALU_DEP_2) | instskip(SKIP_1) | instid1(VALU_DEP_3)
	v_lshl_add_u32 v0, s13, 5, v8
	v_lshlrev_b32_e32 v10, 8, v8
	v_lshlrev_b32_e32 v2, 3, v9
	s_delay_alu instid0(VALU_DEP_3) | instskip(NEXT) | instid1(VALU_DEP_2)
	v_ashrrev_i32_e32 v1, 31, v0
	v_or_b32_e32 v12, 0x2000, v2
	s_delay_alu instid0(VALU_DEP_4) | instskip(NEXT) | instid1(VALU_DEP_2)
	v_add_nc_u32_e32 v11, v10, v2
	v_add_nc_u32_e32 v13, v12, v10
	s_waitcnt lgkmcnt(0)
	s_add_u32 s2, s24, s28
	s_addc_u32 s3, s25, s29
	s_load_b64 s[24:25], s[2:3], 0x0
	s_clause 0x1
	s_load_b128 s[8:11], s[0:1], 0x38
	s_load_b128 s[16:19], s[0:1], 0x58
	s_lshl_b64 s[26:27], s[26:27], 3
	s_waitcnt lgkmcnt(0)
	s_add_u32 s3, s24, s26
	s_addc_u32 s24, s25, s27
	s_add_u32 s8, s8, s28
	s_addc_u32 s9, s9, s29
	;; [unrolled: 2-line block ×3, first 2 shown]
	s_load_b64 s[26:27], s[8:9], 0x0
	s_load_b64 s[16:17], s[16:17], 0x0
	s_clause 0x1
	s_load_b64 s[8:9], s[0:1], 0x68
	s_load_b32 s13, s[0:1], 0x84
	v_cmp_gt_i32_e64 s0, s5, v0
	s_bitcmp1_b32 s4, 0
	v_lshlrev_b64 v[0:1], 3, v[0:1]
	s_cselect_b32 s1, -1, 0
	s_lshl_b64 s[4:5], s[18:19], 3
	s_waitcnt lgkmcnt(0)
	s_add_u32 s2, s16, s4
	s_addc_u32 s16, s17, s5
	s_lshl_b64 s[4:5], s[10:11], 3
	v_add_co_u32 v14, vcc_lo, s2, v0
	s_add_u32 s4, s26, s4
	v_add_co_ci_u32_e32 v15, vcc_lo, s16, v1, vcc_lo
	s_addc_u32 s2, s27, s5
	v_add_co_u32 v16, vcc_lo, s4, v0
	v_add_co_ci_u32_e32 v17, vcc_lo, s2, v1, vcc_lo
	s_cmp_gt_i32 s6, 0
	s_cselect_b32 s4, -1, 0
	s_branch .LBB49_4
.LBB49_3:                               ;   in Loop: Header=BB49_4 Depth=1
	s_add_i32 s14, s14, s13
	s_delay_alu instid0(SALU_CYCLE_1)
	s_cmp_gt_i32 s14, s15
	s_cbranch_scc1 .LBB49_15
.LBB49_4:                               ; =>This Loop Header: Depth=1
                                        ;     Child Loop BB49_7 Depth 2
                                        ;       Child Loop BB49_13 Depth 3
	s_and_not1_b32 vcc_lo, exec_lo, s4
	s_cbranch_vccnz .LBB49_3
; %bb.5:                                ;   in Loop: Header=BB49_4 Depth=1
	v_lshl_add_u32 v18, s14, 5, v9
	s_mov_b32 s5, 0
	s_delay_alu instid0(VALU_DEP_1) | instskip(SKIP_3) | instid1(VALU_DEP_4)
	v_ashrrev_i32_e32 v2, 31, v18
	v_mul_lo_u32 v3, v18, s9
	v_mad_u64_u32 v[0:1], null, v18, s8, 0
	v_cmp_gt_i32_e32 vcc_lo, s6, v18
	v_mul_lo_u32 v2, v2, s8
	s_delay_alu instid0(VALU_DEP_1) | instskip(NEXT) | instid1(VALU_DEP_1)
	v_add3_u32 v1, v1, v3, v2
	v_lshlrev_b64 v[0:1], 3, v[0:1]
	s_delay_alu instid0(VALU_DEP_1) | instskip(NEXT) | instid1(VALU_DEP_1)
	v_add_co_u32 v0, s2, v14, v0
	v_add_co_ci_u32_e64 v1, s2, v15, v1, s2
	s_and_b32 s2, s0, vcc_lo
	s_branch .LBB49_7
.LBB49_6:                               ;   in Loop: Header=BB49_7 Depth=2
	s_or_b32 exec_lo, exec_lo, s10
	s_add_i32 s5, s5, 32
	s_waitcnt_vscnt null, 0x0
	s_cmp_ge_i32 s5, s6
	s_barrier
	buffer_gl0_inv
	s_cbranch_scc1 .LBB49_3
.LBB49_7:                               ;   Parent Loop BB49_4 Depth=1
                                        ; =>  This Loop Header: Depth=2
                                        ;       Child Loop BB49_13 Depth 3
	v_dual_mov_b32 v2, 0 :: v_dual_add_nc_u32 v3, s5, v9
	v_dual_mov_b32 v4, 0 :: v_dual_mov_b32 v5, 0
	s_delay_alu instid0(VALU_DEP_2) | instskip(SKIP_1) | instid1(SALU_CYCLE_1)
	v_cmp_gt_i32_e32 vcc_lo, s6, v3
	s_and_b32 s11, s0, vcc_lo
	s_and_saveexec_b32 s10, s11
	s_cbranch_execz .LBB49_9
; %bb.8:                                ;   in Loop: Header=BB49_7 Depth=2
	v_ashrrev_i32_e32 v6, 31, v3
	v_mul_lo_u32 v7, v3, s23
	v_mad_u64_u32 v[4:5], null, v3, s22, 0
	s_delay_alu instid0(VALU_DEP_3) | instskip(NEXT) | instid1(VALU_DEP_1)
	v_mul_lo_u32 v3, v6, s22
	v_add3_u32 v5, v5, v7, v3
	s_delay_alu instid0(VALU_DEP_1) | instskip(NEXT) | instid1(VALU_DEP_1)
	v_lshlrev_b64 v[3:4], 3, v[4:5]
	v_add_co_u32 v3, vcc_lo, v16, v3
	s_delay_alu instid0(VALU_DEP_2)
	v_add_co_ci_u32_e32 v4, vcc_lo, v17, v4, vcc_lo
	global_load_b64 v[4:5], v[3:4], off
.LBB49_9:                               ;   in Loop: Header=BB49_7 Depth=2
	s_or_b32 exec_lo, exec_lo, s10
	v_add_nc_u32_e32 v3, s5, v8
	s_waitcnt vmcnt(0)
	ds_store_b64 v11, v[4:5]
	v_cndmask_b32_e64 v6, v18, v3, s1
	v_cndmask_b32_e64 v7, v3, v18, s1
	s_delay_alu instid0(VALU_DEP_1) | instskip(SKIP_1) | instid1(VALU_DEP_1)
	v_cmp_gt_i32_e32 vcc_lo, v6, v7
	v_dual_cndmask_b32 v6, v3, v18 :: v_dual_cndmask_b32 v7, v18, v3
	v_max_i32_e32 v3, v6, v7
	s_delay_alu instid0(VALU_DEP_1)
	v_cmp_gt_i32_e32 vcc_lo, s6, v3
	v_mov_b32_e32 v3, 0
	s_and_saveexec_b32 s10, vcc_lo
	s_cbranch_execz .LBB49_11
; %bb.10:                               ;   in Loop: Header=BB49_7 Depth=2
	v_ashrrev_i32_e32 v4, 31, v7
	v_mul_lo_u32 v5, v7, s21
	v_mad_u64_u32 v[2:3], null, v7, s20, 0
	v_ashrrev_i32_e32 v7, 31, v6
	s_delay_alu instid0(VALU_DEP_4) | instskip(NEXT) | instid1(VALU_DEP_1)
	v_mul_lo_u32 v4, v4, s20
	v_add3_u32 v3, v3, v5, v4
	s_delay_alu instid0(VALU_DEP_3) | instskip(NEXT) | instid1(VALU_DEP_2)
	v_lshlrev_b64 v[4:5], 3, v[6:7]
	v_lshlrev_b64 v[2:3], 3, v[2:3]
	s_delay_alu instid0(VALU_DEP_1) | instskip(NEXT) | instid1(VALU_DEP_2)
	v_add_co_u32 v2, vcc_lo, s3, v2
	v_add_co_ci_u32_e32 v3, vcc_lo, s24, v3, vcc_lo
	s_delay_alu instid0(VALU_DEP_2) | instskip(NEXT) | instid1(VALU_DEP_2)
	v_add_co_u32 v2, vcc_lo, v2, v4
	v_add_co_ci_u32_e32 v3, vcc_lo, v3, v5, vcc_lo
	global_load_b64 v[2:3], v[2:3], off
.LBB49_11:                              ;   in Loop: Header=BB49_7 Depth=2
	s_or_b32 exec_lo, exec_lo, s10
	s_waitcnt vmcnt(0)
	ds_store_b64 v13, v[2:3]
	s_waitcnt lgkmcnt(0)
	s_barrier
	buffer_gl0_inv
	s_and_saveexec_b32 s10, s2
	s_cbranch_execz .LBB49_6
; %bb.12:                               ;   in Loop: Header=BB49_7 Depth=2
	v_dual_mov_b32 v3, 0 :: v_dual_mov_b32 v2, v12
	v_mov_b32_e32 v4, 0
	s_mov_b32 s11, 0
.LBB49_13:                              ;   Parent Loop BB49_4 Depth=1
                                        ;     Parent Loop BB49_7 Depth=2
                                        ; =>    This Inner Loop Header: Depth=3
	s_delay_alu instid0(SALU_CYCLE_1)
	v_add_nc_u32_e32 v5, s11, v10
	ds_load_2addr_b64 v[19:22], v2 offset1:32
	ds_load_2addr_b64 v[23:26], v2 offset0:64 offset1:96
	ds_load_2addr_b64 v[27:30], v2 offset0:128 offset1:160
	;; [unrolled: 1-line block ×3, first 2 shown]
	ds_load_b128 v[35:38], v5
	ds_load_b128 v[39:42], v5 offset:16
	ds_load_b128 v[43:46], v5 offset:32
	;; [unrolled: 1-line block ×3, first 2 shown]
	v_add_nc_u32_e32 v2, 0x800, v2
	s_add_i32 s11, s11, 64
	s_delay_alu instid0(SALU_CYCLE_1)
	s_cmpk_eq_i32 s11, 0x100
	s_waitcnt lgkmcnt(3)
	v_mul_f32_e32 v6, v19, v36
	v_dual_mul_f32 v5, v20, v36 :: v_dual_mul_f32 v36, v21, v38
	s_waitcnt lgkmcnt(2)
	v_dual_mul_f32 v7, v22, v38 :: v_dual_mul_f32 v38, v24, v40
	v_dual_mul_f32 v40, v23, v40 :: v_dual_mul_f32 v51, v26, v42
	s_delay_alu instid0(VALU_DEP_3)
	v_fma_f32 v5, v19, v35, -v5
	v_mul_f32_e32 v42, v25, v42
	v_fmac_f32_e32 v6, v20, v35
	v_fma_f32 v7, v21, v37, -v7
	s_waitcnt lgkmcnt(1)
	v_dual_mul_f32 v52, v28, v44 :: v_dual_mul_f32 v19, v30, v46
	v_add_f32_e32 v3, v3, v5
	v_dual_mul_f32 v44, v27, v44 :: v_dual_mul_f32 v5, v29, v46
	v_fmac_f32_e32 v36, v22, v37
	v_add_f32_e32 v4, v4, v6
	v_fma_f32 v6, v23, v39, -v38
	v_add_f32_e32 v3, v3, v7
	v_dual_fmac_f32 v5, v30, v45 :: v_dual_fmac_f32 v40, v24, v39
	v_fma_f32 v20, v25, v41, -v51
	v_fma_f32 v21, v27, v43, -v52
	s_delay_alu instid0(VALU_DEP_4) | instskip(SKIP_3) | instid1(VALU_DEP_3)
	v_add_f32_e32 v3, v3, v6
	s_waitcnt lgkmcnt(0)
	v_dual_mul_f32 v7, v32, v48 :: v_dual_fmac_f32 v42, v26, v41
	v_fma_f32 v19, v29, v45, -v19
	v_add_f32_e32 v3, v3, v20
	v_add_f32_e32 v4, v4, v36
	s_delay_alu instid0(VALU_DEP_4) | instskip(NEXT) | instid1(VALU_DEP_2)
	v_fma_f32 v7, v31, v47, -v7
	v_dual_add_f32 v3, v3, v21 :: v_dual_add_f32 v4, v4, v40
	v_dual_mul_f32 v21, v33, v50 :: v_dual_mul_f32 v6, v31, v48
	s_delay_alu instid0(VALU_DEP_2) | instskip(SKIP_1) | instid1(VALU_DEP_3)
	v_dual_add_f32 v3, v3, v19 :: v_dual_add_f32 v4, v4, v42
	v_mul_f32_e32 v20, v34, v50
	v_dual_fmac_f32 v21, v34, v49 :: v_dual_fmac_f32 v6, v32, v47
	s_delay_alu instid0(VALU_DEP_3) | instskip(SKIP_1) | instid1(VALU_DEP_1)
	v_add_f32_e32 v3, v3, v7
	v_fmac_f32_e32 v44, v28, v43
	v_add_f32_e32 v4, v4, v44
	s_delay_alu instid0(VALU_DEP_1) | instskip(SKIP_1) | instid1(VALU_DEP_1)
	v_add_f32_e32 v4, v4, v5
	v_fma_f32 v5, v33, v49, -v20
	v_dual_add_f32 v4, v4, v6 :: v_dual_add_f32 v3, v3, v5
	s_delay_alu instid0(VALU_DEP_1)
	v_add_f32_e32 v4, v4, v21
	s_cbranch_scc0 .LBB49_13
; %bb.14:                               ;   in Loop: Header=BB49_7 Depth=2
	global_load_b64 v[5:6], v[0:1], off
	v_dual_mul_f32 v2, s12, v4 :: v_dual_mul_f32 v7, s12, v3
	s_delay_alu instid0(VALU_DEP_1) | instskip(SKIP_1) | instid1(VALU_DEP_1)
	v_fma_f32 v2, s7, v3, -v2
	s_waitcnt vmcnt(0)
	v_dual_fmac_f32 v7, s7, v4 :: v_dual_add_f32 v2, v2, v5
	s_delay_alu instid0(VALU_DEP_1)
	v_add_f32_e32 v3, v7, v6
	global_store_b64 v[0:1], v[2:3], off
	s_branch .LBB49_6
.LBB49_15:
	s_endpgm
	.section	.rodata,"a",@progbits
	.p2align	6, 0x0
	.amdhsa_kernel _ZL24rocblas_symm_hemm_kernelILb0ELb1ELi32E19rocblas_complex_numIfEPKPKS1_PKPS1_EvbiiT2_T3_lllSA_lllT4_llli
		.amdhsa_group_segment_fixed_size 16384
		.amdhsa_private_segment_fixed_size 0
		.amdhsa_kernarg_size 384
		.amdhsa_user_sgpr_count 13
		.amdhsa_user_sgpr_dispatch_ptr 0
		.amdhsa_user_sgpr_queue_ptr 0
		.amdhsa_user_sgpr_kernarg_segment_ptr 1
		.amdhsa_user_sgpr_dispatch_id 0
		.amdhsa_user_sgpr_private_segment_size 0
		.amdhsa_wavefront_size32 1
		.amdhsa_uses_dynamic_stack 0
		.amdhsa_enable_private_segment 0
		.amdhsa_system_sgpr_workgroup_id_x 1
		.amdhsa_system_sgpr_workgroup_id_y 1
		.amdhsa_system_sgpr_workgroup_id_z 1
		.amdhsa_system_sgpr_workgroup_info 0
		.amdhsa_system_vgpr_workitem_id 1
		.amdhsa_next_free_vgpr 53
		.amdhsa_next_free_sgpr 30
		.amdhsa_reserve_vcc 1
		.amdhsa_float_round_mode_32 0
		.amdhsa_float_round_mode_16_64 0
		.amdhsa_float_denorm_mode_32 3
		.amdhsa_float_denorm_mode_16_64 3
		.amdhsa_dx10_clamp 1
		.amdhsa_ieee_mode 1
		.amdhsa_fp16_overflow 0
		.amdhsa_workgroup_processor_mode 1
		.amdhsa_memory_ordered 1
		.amdhsa_forward_progress 0
		.amdhsa_shared_vgpr_count 0
		.amdhsa_exception_fp_ieee_invalid_op 0
		.amdhsa_exception_fp_denorm_src 0
		.amdhsa_exception_fp_ieee_div_zero 0
		.amdhsa_exception_fp_ieee_overflow 0
		.amdhsa_exception_fp_ieee_underflow 0
		.amdhsa_exception_fp_ieee_inexact 0
		.amdhsa_exception_int_div_zero 0
	.end_amdhsa_kernel
	.section	.text._ZL24rocblas_symm_hemm_kernelILb0ELb1ELi32E19rocblas_complex_numIfEPKPKS1_PKPS1_EvbiiT2_T3_lllSA_lllT4_llli,"axG",@progbits,_ZL24rocblas_symm_hemm_kernelILb0ELb1ELi32E19rocblas_complex_numIfEPKPKS1_PKPS1_EvbiiT2_T3_lllSA_lllT4_llli,comdat
.Lfunc_end49:
	.size	_ZL24rocblas_symm_hemm_kernelILb0ELb1ELi32E19rocblas_complex_numIfEPKPKS1_PKPS1_EvbiiT2_T3_lllSA_lllT4_llli, .Lfunc_end49-_ZL24rocblas_symm_hemm_kernelILb0ELb1ELi32E19rocblas_complex_numIfEPKPKS1_PKPS1_EvbiiT2_T3_lllSA_lllT4_llli
                                        ; -- End function
	.section	.AMDGPU.csdata,"",@progbits
; Kernel info:
; codeLenInByte = 1320
; NumSgprs: 32
; NumVgprs: 53
; ScratchSize: 0
; MemoryBound: 0
; FloatMode: 240
; IeeeMode: 1
; LDSByteSize: 16384 bytes/workgroup (compile time only)
; SGPRBlocks: 3
; VGPRBlocks: 6
; NumSGPRsForWavesPerEU: 32
; NumVGPRsForWavesPerEU: 53
; Occupancy: 16
; WaveLimiterHint : 1
; COMPUTE_PGM_RSRC2:SCRATCH_EN: 0
; COMPUTE_PGM_RSRC2:USER_SGPR: 13
; COMPUTE_PGM_RSRC2:TRAP_HANDLER: 0
; COMPUTE_PGM_RSRC2:TGID_X_EN: 1
; COMPUTE_PGM_RSRC2:TGID_Y_EN: 1
; COMPUTE_PGM_RSRC2:TGID_Z_EN: 1
; COMPUTE_PGM_RSRC2:TIDIG_COMP_CNT: 1
	.section	.text._ZL25rocblas_symm_scale_kernelILi128ELi8EPK19rocblas_complex_numIdEPKPS1_EviiT1_T2_llli,"axG",@progbits,_ZL25rocblas_symm_scale_kernelILi128ELi8EPK19rocblas_complex_numIdEPKPS1_EviiT1_T2_llli,comdat
	.globl	_ZL25rocblas_symm_scale_kernelILi128ELi8EPK19rocblas_complex_numIdEPKPS1_EviiT1_T2_llli ; -- Begin function _ZL25rocblas_symm_scale_kernelILi128ELi8EPK19rocblas_complex_numIdEPKPS1_EviiT1_T2_llli
	.p2align	8
	.type	_ZL25rocblas_symm_scale_kernelILi128ELi8EPK19rocblas_complex_numIdEPKPS1_EviiT1_T2_llli,@function
_ZL25rocblas_symm_scale_kernelILi128ELi8EPK19rocblas_complex_numIdEPKPS1_EviiT1_T2_llli: ; @_ZL25rocblas_symm_scale_kernelILi128ELi8EPK19rocblas_complex_numIdEPKPS1_EviiT1_T2_llli
; %bb.0:
	s_load_b256 s[4:11], s[0:1], 0x8
	s_waitcnt lgkmcnt(0)
	s_load_b128 s[16:19], s[4:5], 0x0
	s_waitcnt lgkmcnt(0)
	v_cmp_eq_f64_e64 s2, s[16:17], 1.0
	v_cmp_eq_f64_e64 s3, s[18:19], 0
	s_delay_alu instid0(VALU_DEP_1) | instskip(NEXT) | instid1(SALU_CYCLE_1)
	s_and_b32 s2, s2, s3
	s_and_b32 vcc_lo, exec_lo, s2
	s_cbranch_vccnz .LBB50_6
; %bb.1:
	s_load_b64 s[2:3], s[0:1], 0x0
	v_bfe_u32 v1, v0, 10, 10
	v_dual_mov_b32 v5, 0 :: v_dual_and_b32 v0, 0x3ff, v0
	s_delay_alu instid0(VALU_DEP_2) | instskip(NEXT) | instid1(VALU_DEP_2)
	v_lshl_add_u32 v4, s14, 3, v1
	v_lshl_add_u32 v0, s13, 7, v0
	s_waitcnt lgkmcnt(0)
	s_ashr_i32 s5, s3, 31
	s_mov_b32 s4, s3
	s_delay_alu instid0(VALU_DEP_1) | instskip(SKIP_1) | instid1(VALU_DEP_2)
	v_cmp_gt_u32_e64 s2, s2, v0
	v_cmp_gt_i64_e32 vcc_lo, s[4:5], v[4:5]
	s_and_b32 s2, s2, vcc_lo
	s_delay_alu instid0(SALU_CYCLE_1)
	s_and_saveexec_b32 s3, s2
	s_cbranch_execz .LBB50_6
; %bb.2:
	v_mad_u64_u32 v[2:3], null, s10, v4, 0
	v_cmp_neq_f64_e64 s14, s[16:17], 0
	v_cmp_neq_f64_e64 s20, s[18:19], 0
	s_mov_b32 s12, s15
	s_mov_b32 s13, 0
	s_load_b32 s15, s[0:1], 0x3c
	s_lshl_b64 s[0:1], s[12:13], 3
	s_delay_alu instid0(VALU_DEP_3)
	v_mov_b32_e32 v1, v3
	s_add_u32 s0, s6, s0
	s_addc_u32 s1, s7, s1
	s_lshl_b64 s[6:7], s[8:9], 4
	s_load_b64 s[2:3], s[0:1], 0x0
	v_mad_u64_u32 v[6:7], null, s11, v4, v[1:2]
	v_mov_b32_e32 v1, v5
	s_delay_alu instid0(VALU_DEP_1) | instskip(NEXT) | instid1(VALU_DEP_3)
	v_lshlrev_b64 v[0:1], 4, v[0:1]
	v_mov_b32_e32 v3, v6
	s_waitcnt lgkmcnt(0)
	s_lshl_b32 s1, s15, 3
	s_delay_alu instid0(VALU_DEP_1) | instskip(SKIP_1) | instid1(VALU_DEP_1)
	v_lshlrev_b64 v[2:3], 4, v[2:3]
	s_mul_i32 s0, s11, s1
	v_add_co_u32 v2, vcc_lo, v2, s6
	s_delay_alu instid0(VALU_DEP_2) | instskip(SKIP_1) | instid1(VALU_DEP_2)
	v_add_co_ci_u32_e32 v3, vcc_lo, s7, v3, vcc_lo
	s_mul_hi_u32 s6, s10, s1
	v_add_co_u32 v0, vcc_lo, v2, v0
	s_delay_alu instid0(VALU_DEP_2) | instskip(NEXT) | instid1(VALU_DEP_2)
	v_add_co_ci_u32_e32 v1, vcc_lo, v3, v1, vcc_lo
	v_add_co_u32 v0, vcc_lo, v0, s2
	s_delay_alu instid0(VALU_DEP_2) | instskip(SKIP_1) | instid1(VALU_DEP_2)
	v_add_co_ci_u32_e32 v1, vcc_lo, s3, v1, vcc_lo
	s_add_i32 s3, s6, s0
	v_add_co_u32 v6, vcc_lo, v0, 8
	s_delay_alu instid0(VALU_DEP_2)
	v_add_co_ci_u32_e32 v7, vcc_lo, 0, v1, vcc_lo
	s_mul_i32 s2, s10, s1
	s_or_b32 s6, s14, s20
	s_lshl_b64 s[2:3], s[2:3], 4
	s_set_inst_prefetch_distance 0x1
	s_branch .LBB50_4
	.p2align	6
.LBB50_3:                               ;   in Loop: Header=BB50_4 Depth=1
	v_add_co_u32 v4, vcc_lo, v4, s1
	v_add_co_ci_u32_e32 v5, vcc_lo, 0, v5, vcc_lo
	global_store_b128 v[6:7], v[0:3], off offset:-8
	v_add_co_u32 v6, s0, v6, s2
	v_cmp_le_i64_e32 vcc_lo, s[4:5], v[4:5]
	v_add_co_ci_u32_e64 v7, s0, s3, v7, s0
	s_or_b32 s13, vcc_lo, s13
	s_delay_alu instid0(SALU_CYCLE_1)
	s_and_not1_b32 exec_lo, exec_lo, s13
	s_cbranch_execz .LBB50_6
.LBB50_4:                               ; =>This Inner Loop Header: Depth=1
	v_mov_b32_e32 v2, 0
	v_mov_b32_e32 v3, 0
	s_delay_alu instid0(VALU_DEP_2) | instskip(SKIP_1) | instid1(VALU_DEP_2)
	v_mov_b32_e32 v0, v2
	s_and_not1_b32 vcc_lo, exec_lo, s6
	v_mov_b32_e32 v1, v3
	s_cbranch_vccnz .LBB50_3
; %bb.5:                                ;   in Loop: Header=BB50_4 Depth=1
	global_load_b128 v[8:11], v[6:7], off offset:-8
	s_waitcnt vmcnt(0)
	v_mul_f64 v[0:1], s[18:19], v[10:11]
	v_mul_f64 v[2:3], s[16:17], v[10:11]
	s_delay_alu instid0(VALU_DEP_2) | instskip(NEXT) | instid1(VALU_DEP_2)
	v_fma_f64 v[0:1], s[16:17], v[8:9], -v[0:1]
	v_fma_f64 v[2:3], s[18:19], v[8:9], v[2:3]
	s_branch .LBB50_3
.LBB50_6:
	s_set_inst_prefetch_distance 0x2
	s_nop 0
	s_sendmsg sendmsg(MSG_DEALLOC_VGPRS)
	s_endpgm
	.section	.rodata,"a",@progbits
	.p2align	6, 0x0
	.amdhsa_kernel _ZL25rocblas_symm_scale_kernelILi128ELi8EPK19rocblas_complex_numIdEPKPS1_EviiT1_T2_llli
		.amdhsa_group_segment_fixed_size 0
		.amdhsa_private_segment_fixed_size 0
		.amdhsa_kernarg_size 312
		.amdhsa_user_sgpr_count 13
		.amdhsa_user_sgpr_dispatch_ptr 0
		.amdhsa_user_sgpr_queue_ptr 0
		.amdhsa_user_sgpr_kernarg_segment_ptr 1
		.amdhsa_user_sgpr_dispatch_id 0
		.amdhsa_user_sgpr_private_segment_size 0
		.amdhsa_wavefront_size32 1
		.amdhsa_uses_dynamic_stack 0
		.amdhsa_enable_private_segment 0
		.amdhsa_system_sgpr_workgroup_id_x 1
		.amdhsa_system_sgpr_workgroup_id_y 1
		.amdhsa_system_sgpr_workgroup_id_z 1
		.amdhsa_system_sgpr_workgroup_info 0
		.amdhsa_system_vgpr_workitem_id 1
		.amdhsa_next_free_vgpr 12
		.amdhsa_next_free_sgpr 21
		.amdhsa_reserve_vcc 1
		.amdhsa_float_round_mode_32 0
		.amdhsa_float_round_mode_16_64 0
		.amdhsa_float_denorm_mode_32 3
		.amdhsa_float_denorm_mode_16_64 3
		.amdhsa_dx10_clamp 1
		.amdhsa_ieee_mode 1
		.amdhsa_fp16_overflow 0
		.amdhsa_workgroup_processor_mode 1
		.amdhsa_memory_ordered 1
		.amdhsa_forward_progress 0
		.amdhsa_shared_vgpr_count 0
		.amdhsa_exception_fp_ieee_invalid_op 0
		.amdhsa_exception_fp_denorm_src 0
		.amdhsa_exception_fp_ieee_div_zero 0
		.amdhsa_exception_fp_ieee_overflow 0
		.amdhsa_exception_fp_ieee_underflow 0
		.amdhsa_exception_fp_ieee_inexact 0
		.amdhsa_exception_int_div_zero 0
	.end_amdhsa_kernel
	.section	.text._ZL25rocblas_symm_scale_kernelILi128ELi8EPK19rocblas_complex_numIdEPKPS1_EviiT1_T2_llli,"axG",@progbits,_ZL25rocblas_symm_scale_kernelILi128ELi8EPK19rocblas_complex_numIdEPKPS1_EviiT1_T2_llli,comdat
.Lfunc_end50:
	.size	_ZL25rocblas_symm_scale_kernelILi128ELi8EPK19rocblas_complex_numIdEPKPS1_EviiT1_T2_llli, .Lfunc_end50-_ZL25rocblas_symm_scale_kernelILi128ELi8EPK19rocblas_complex_numIdEPKPS1_EviiT1_T2_llli
                                        ; -- End function
	.section	.AMDGPU.csdata,"",@progbits
; Kernel info:
; codeLenInByte = 516
; NumSgprs: 23
; NumVgprs: 12
; ScratchSize: 0
; MemoryBound: 0
; FloatMode: 240
; IeeeMode: 1
; LDSByteSize: 0 bytes/workgroup (compile time only)
; SGPRBlocks: 2
; VGPRBlocks: 1
; NumSGPRsForWavesPerEU: 23
; NumVGPRsForWavesPerEU: 12
; Occupancy: 16
; WaveLimiterHint : 0
; COMPUTE_PGM_RSRC2:SCRATCH_EN: 0
; COMPUTE_PGM_RSRC2:USER_SGPR: 13
; COMPUTE_PGM_RSRC2:TRAP_HANDLER: 0
; COMPUTE_PGM_RSRC2:TGID_X_EN: 1
; COMPUTE_PGM_RSRC2:TGID_Y_EN: 1
; COMPUTE_PGM_RSRC2:TGID_Z_EN: 1
; COMPUTE_PGM_RSRC2:TIDIG_COMP_CNT: 1
	.section	.text._ZL24rocblas_symm_hemm_kernelILb0ELb0ELi32EPK19rocblas_complex_numIdEPKS3_PKPS1_EvbiiT2_T3_lllSA_lllT4_llli,"axG",@progbits,_ZL24rocblas_symm_hemm_kernelILb0ELb0ELi32EPK19rocblas_complex_numIdEPKS3_PKPS1_EvbiiT2_T3_lllSA_lllT4_llli,comdat
	.globl	_ZL24rocblas_symm_hemm_kernelILb0ELb0ELi32EPK19rocblas_complex_numIdEPKS3_PKPS1_EvbiiT2_T3_lllSA_lllT4_llli ; -- Begin function _ZL24rocblas_symm_hemm_kernelILb0ELb0ELi32EPK19rocblas_complex_numIdEPKS3_PKPS1_EvbiiT2_T3_lllSA_lllT4_llli
	.p2align	8
	.type	_ZL24rocblas_symm_hemm_kernelILb0ELb0ELi32EPK19rocblas_complex_numIdEPKS3_PKPS1_EvbiiT2_T3_lllSA_lllT4_llli,@function
_ZL24rocblas_symm_hemm_kernelILb0ELb0ELi32EPK19rocblas_complex_numIdEPKS3_PKPS1_EvbiiT2_T3_lllSA_lllT4_llli: ; @_ZL24rocblas_symm_hemm_kernelILb0ELb0ELi32EPK19rocblas_complex_numIdEPKS3_PKPS1_EvbiiT2_T3_lllSA_lllT4_llli
; %bb.0:
	s_load_b256 s[4:11], s[0:1], 0x10
	s_waitcnt lgkmcnt(0)
	s_load_b128 s[16:19], s[4:5], 0x0
	s_waitcnt lgkmcnt(0)
	v_cmp_eq_f64_e64 s3, s[16:17], 0
	v_cmp_eq_f64_e64 s4, s[18:19], 0
	s_delay_alu instid0(VALU_DEP_1) | instskip(NEXT) | instid1(SALU_CYCLE_1)
	s_and_b32 s3, s3, s4
	s_and_b32 vcc_lo, exec_lo, s3
	s_cbranch_vccnz .LBB51_15
; %bb.1:
	s_load_b128 s[20:23], s[0:1], 0x0
	s_waitcnt lgkmcnt(0)
	s_add_i32 s3, s22, -1
	s_delay_alu instid0(SALU_CYCLE_1) | instskip(NEXT) | instid1(SALU_CYCLE_1)
	s_ashr_i32 s4, s3, 31
	s_lshr_b32 s4, s4, 27
	s_delay_alu instid0(SALU_CYCLE_1) | instskip(NEXT) | instid1(SALU_CYCLE_1)
	s_add_i32 s3, s3, s4
	s_ashr_i32 s12, s3, 5
	s_delay_alu instid0(SALU_CYCLE_1)
	s_cmp_gt_i32 s14, s12
	s_cbranch_scc1 .LBB51_15
; %bb.2:
	s_mov_b32 s2, s15
	s_mov_b32 s3, 0
	v_and_b32_e32 v13, 0x3ff, v0
	s_lshl_b64 s[28:29], s[2:3], 3
	v_bfe_u32 v14, v0, 10, 10
	s_add_u32 s2, s6, s28
	s_addc_u32 s3, s7, s29
	s_load_b64 s[4:5], s[2:3], 0x0
	s_load_b128 s[24:27], s[0:1], 0x38
	s_lshl_b64 s[6:7], s[8:9], 4
	v_lshl_add_u32 v8, s13, 5, v13
	s_load_b64 s[8:9], s[0:1], 0x48
	v_lshlrev_b32_e32 v0, 4, v14
	v_lshlrev_b32_e32 v15, 9, v13
	s_delay_alu instid0(VALU_DEP_3) | instskip(NEXT) | instid1(VALU_DEP_3)
	v_ashrrev_i32_e32 v9, 31, v8
	v_or_b32_e32 v17, 0x4000, v0
	s_delay_alu instid0(VALU_DEP_3) | instskip(NEXT) | instid1(VALU_DEP_3)
	v_add_nc_u32_e32 v16, v15, v0
	v_lshlrev_b64 v[0:1], 4, v[8:9]
	s_delay_alu instid0(VALU_DEP_3)
	v_add_nc_u32_e32 v18, v17, v15
	s_waitcnt lgkmcnt(0)
	s_add_u32 s3, s4, s6
	s_addc_u32 s15, s5, s7
	s_add_u32 s4, s24, s28
	s_addc_u32 s5, s25, s29
	s_load_b64 s[24:25], s[0:1], 0x68
	s_load_b64 s[30:31], s[4:5], 0x0
	s_load_b128 s[4:7], s[0:1], 0x58
	s_lshl_b64 s[26:27], s[26:27], 4
	s_waitcnt lgkmcnt(0)
	s_add_u32 s23, s30, s26
	s_addc_u32 s26, s31, s27
	s_add_u32 s4, s4, s28
	s_addc_u32 s5, s5, s29
	s_bitcmp1_b32 s20, 0
	s_load_b64 s[28:29], s[4:5], 0x0
	s_load_b32 s4, s[0:1], 0x84
	s_cselect_b32 s1, -1, 0
	s_lshl_b64 s[6:7], s[6:7], 4
	v_cmp_gt_i32_e64 s0, s21, v8
	s_waitcnt lgkmcnt(0)
	s_add_u32 s2, s28, s6
	s_addc_u32 s5, s29, s7
	v_add_co_u32 v19, vcc_lo, s2, v0
	v_add_co_ci_u32_e32 v20, vcc_lo, s5, v1, vcc_lo
	s_cmp_gt_i32 s21, 0
	s_cselect_b32 s5, -1, 0
	s_branch .LBB51_4
.LBB51_3:                               ;   in Loop: Header=BB51_4 Depth=1
	s_add_i32 s14, s14, s4
	s_delay_alu instid0(SALU_CYCLE_1)
	s_cmp_gt_i32 s14, s12
	s_cbranch_scc1 .LBB51_15
.LBB51_4:                               ; =>This Loop Header: Depth=1
                                        ;     Child Loop BB51_7 Depth 2
                                        ;       Child Loop BB51_13 Depth 3
	s_and_not1_b32 vcc_lo, exec_lo, s5
	s_cbranch_vccnz .LBB51_3
; %bb.5:                                ;   in Loop: Header=BB51_4 Depth=1
	v_lshl_add_u32 v4, s14, 5, v14
	s_mov_b32 s7, 0
	s_delay_alu instid0(VALU_DEP_1) | instskip(SKIP_3) | instid1(VALU_DEP_4)
	v_ashrrev_i32_e32 v5, 31, v4
	v_mul_lo_u32 v6, v4, s9
	v_mad_u64_u32 v[0:1], null, v4, s8, 0
	v_mul_lo_u32 v9, v4, s25
	v_mul_lo_u32 v7, v5, s8
	v_mad_u64_u32 v[2:3], null, v4, s24, 0
	v_mul_lo_u32 v5, v5, s24
	v_cmp_gt_i32_e32 vcc_lo, s22, v4
	s_delay_alu instid0(VALU_DEP_4) | instskip(SKIP_1) | instid1(VALU_DEP_3)
	v_add3_u32 v1, v1, v6, v7
	s_and_b32 s6, s0, vcc_lo
	v_add3_u32 v3, v3, v9, v5
	s_delay_alu instid0(VALU_DEP_2) | instskip(NEXT) | instid1(VALU_DEP_2)
	v_lshlrev_b64 v[0:1], 4, v[0:1]
	v_lshlrev_b64 v[2:3], 4, v[2:3]
	s_delay_alu instid0(VALU_DEP_2) | instskip(NEXT) | instid1(VALU_DEP_1)
	v_add_co_u32 v21, s2, s23, v0
	v_add_co_ci_u32_e64 v22, s2, s26, v1, s2
	s_delay_alu instid0(VALU_DEP_3) | instskip(NEXT) | instid1(VALU_DEP_1)
	v_add_co_u32 v9, s2, v19, v2
	v_add_co_ci_u32_e64 v10, s2, v20, v3, s2
	s_branch .LBB51_7
.LBB51_6:                               ;   in Loop: Header=BB51_7 Depth=2
	s_or_b32 exec_lo, exec_lo, s2
	s_add_i32 s7, s7, 32
	s_waitcnt_vscnt null, 0x0
	s_cmp_ge_i32 s7, s21
	s_barrier
	buffer_gl0_inv
	s_cbranch_scc1 .LBB51_3
.LBB51_7:                               ;   Parent Loop BB51_4 Depth=1
                                        ; =>  This Loop Header: Depth=2
                                        ;       Child Loop BB51_13 Depth 3
	v_add_nc_u32_e32 v0, s7, v14
	s_delay_alu instid0(VALU_DEP_1) | instskip(SKIP_1) | instid1(VALU_DEP_1)
	v_cndmask_b32_e64 v1, v0, v8, s1
	v_cndmask_b32_e64 v2, v8, v0, s1
	v_cmp_gt_i32_e64 s2, v1, v2
	s_delay_alu instid0(VALU_DEP_1) | instskip(SKIP_3) | instid1(VALU_DEP_3)
	v_cndmask_b32_e64 v2, v8, v0, s2
	v_cndmask_b32_e64 v3, v0, v8, s2
	v_mov_b32_e32 v0, 0
	v_mov_b32_e32 v1, 0
	v_max_i32_e32 v6, v2, v3
	s_delay_alu instid0(VALU_DEP_2) | instskip(NEXT) | instid1(VALU_DEP_2)
	v_dual_mov_b32 v5, v1 :: v_dual_mov_b32 v4, v0
	v_cmp_gt_i32_e64 s2, s21, v6
	v_dual_mov_b32 v7, v1 :: v_dual_mov_b32 v6, v0
	s_delay_alu instid0(VALU_DEP_2)
	s_and_saveexec_b32 s13, s2
	s_cbranch_execz .LBB51_9
; %bb.8:                                ;   in Loop: Header=BB51_7 Depth=2
	v_ashrrev_i32_e32 v6, 31, v3
	v_mul_lo_u32 v7, v3, s11
	v_mad_u64_u32 v[4:5], null, v3, s10, 0
	s_delay_alu instid0(VALU_DEP_3) | instskip(NEXT) | instid1(VALU_DEP_1)
	v_mul_lo_u32 v3, v6, s10
	v_add3_u32 v5, v5, v7, v3
	v_ashrrev_i32_e32 v3, 31, v2
	s_delay_alu instid0(VALU_DEP_2) | instskip(NEXT) | instid1(VALU_DEP_2)
	v_lshlrev_b64 v[4:5], 4, v[4:5]
	v_lshlrev_b64 v[2:3], 4, v[2:3]
	s_delay_alu instid0(VALU_DEP_2) | instskip(NEXT) | instid1(VALU_DEP_1)
	v_add_co_u32 v4, s2, s3, v4
	v_add_co_ci_u32_e64 v5, s2, s15, v5, s2
	s_delay_alu instid0(VALU_DEP_2) | instskip(NEXT) | instid1(VALU_DEP_1)
	v_add_co_u32 v2, s2, v4, v2
	v_add_co_ci_u32_e64 v3, s2, v5, v3, s2
	global_load_b128 v[4:7], v[2:3], off
.LBB51_9:                               ;   in Loop: Header=BB51_7 Depth=2
	s_or_b32 exec_lo, exec_lo, s13
	v_add_nc_u32_e32 v11, s7, v13
	v_dual_mov_b32 v3, v1 :: v_dual_mov_b32 v2, v0
	s_waitcnt vmcnt(0)
	ds_store_b128 v16, v[4:7]
	v_cmp_gt_i32_e64 s2, s21, v11
	s_delay_alu instid0(VALU_DEP_1) | instskip(NEXT) | instid1(SALU_CYCLE_1)
	s_and_b32 s2, s2, vcc_lo
	s_and_saveexec_b32 s13, s2
	s_cbranch_execz .LBB51_11
; %bb.10:                               ;   in Loop: Header=BB51_7 Depth=2
	v_ashrrev_i32_e32 v12, 31, v11
	s_delay_alu instid0(VALU_DEP_1) | instskip(NEXT) | instid1(VALU_DEP_1)
	v_lshlrev_b64 v[0:1], 4, v[11:12]
	v_add_co_u32 v0, s2, v21, v0
	s_delay_alu instid0(VALU_DEP_1)
	v_add_co_ci_u32_e64 v1, s2, v22, v1, s2
	global_load_b128 v[0:3], v[0:1], off
.LBB51_11:                              ;   in Loop: Header=BB51_7 Depth=2
	s_or_b32 exec_lo, exec_lo, s13
	s_waitcnt vmcnt(0)
	ds_store_b128 v18, v[0:3]
	s_waitcnt lgkmcnt(0)
	s_barrier
	buffer_gl0_inv
	s_and_saveexec_b32 s2, s6
	s_cbranch_execz .LBB51_6
; %bb.12:                               ;   in Loop: Header=BB51_7 Depth=2
	v_mov_b32_e32 v0, 0
	v_dual_mov_b32 v1, 0 :: v_dual_mov_b32 v4, v17
	s_mov_b32 s13, 0
	s_delay_alu instid0(VALU_DEP_1)
	v_dual_mov_b32 v3, v1 :: v_dual_mov_b32 v2, v0
.LBB51_13:                              ;   Parent Loop BB51_4 Depth=1
                                        ;     Parent Loop BB51_7 Depth=2
                                        ; =>    This Inner Loop Header: Depth=3
	v_add_nc_u32_e32 v7, s13, v15
	s_addk_i32 s13, 0x80
	ds_load_b128 v[23:26], v4
	ds_load_b128 v[27:30], v7
	ds_load_b128 v[31:34], v4 offset:512
	ds_load_b128 v[35:38], v7 offset:16
	s_cmpk_eq_i32 s13, 0x200
	s_waitcnt lgkmcnt(2)
	v_mul_f64 v[5:6], v[25:26], v[29:30]
	v_mul_f64 v[11:12], v[23:24], v[29:30]
	s_waitcnt lgkmcnt(0)
	v_mul_f64 v[45:46], v[33:34], v[37:38]
	v_mul_f64 v[47:48], v[31:32], v[37:38]
	s_delay_alu instid0(VALU_DEP_4) | instskip(NEXT) | instid1(VALU_DEP_4)
	v_fma_f64 v[5:6], v[23:24], v[27:28], -v[5:6]
	v_fma_f64 v[11:12], v[25:26], v[27:28], v[11:12]
	ds_load_b128 v[23:26], v4 offset:1024
	ds_load_b128 v[27:30], v7 offset:32
	;; [unrolled: 1-line block ×4, first 2 shown]
	v_fma_f64 v[31:32], v[31:32], v[35:36], -v[45:46]
	v_fma_f64 v[33:34], v[33:34], v[35:36], v[47:48]
	s_waitcnt lgkmcnt(2)
	v_mul_f64 v[49:50], v[25:26], v[29:30]
	v_mul_f64 v[29:30], v[23:24], v[29:30]
	v_add_f64 v[0:1], v[0:1], v[5:6]
	v_add_f64 v[2:3], v[2:3], v[11:12]
	s_waitcnt lgkmcnt(0)
	v_mul_f64 v[5:6], v[39:40], v[43:44]
	v_mul_f64 v[11:12], v[37:38], v[43:44]
	v_fma_f64 v[35:36], v[23:24], v[27:28], -v[49:50]
	v_fma_f64 v[43:44], v[25:26], v[27:28], v[29:30]
	v_add_f64 v[45:46], v[0:1], v[31:32]
	v_add_f64 v[47:48], v[2:3], v[33:34]
	ds_load_b128 v[0:3], v4 offset:2048
	ds_load_b128 v[23:26], v7 offset:64
	;; [unrolled: 1-line block ×4, first 2 shown]
	v_fma_f64 v[5:6], v[37:38], v[41:42], -v[5:6]
	v_fma_f64 v[11:12], v[39:40], v[41:42], v[11:12]
	s_waitcnt lgkmcnt(2)
	v_mul_f64 v[49:50], v[2:3], v[25:26]
	v_mul_f64 v[25:26], v[0:1], v[25:26]
	s_waitcnt lgkmcnt(0)
	v_mul_f64 v[41:42], v[29:30], v[33:34]
	v_add_f64 v[35:36], v[45:46], v[35:36]
	v_add_f64 v[37:38], v[47:48], v[43:44]
	v_mul_f64 v[43:44], v[27:28], v[33:34]
	v_fma_f64 v[45:46], v[0:1], v[23:24], -v[49:50]
	v_fma_f64 v[47:48], v[2:3], v[23:24], v[25:26]
	v_fma_f64 v[27:28], v[27:28], v[31:32], -v[41:42]
	v_add_f64 v[5:6], v[35:36], v[5:6]
	v_add_f64 v[11:12], v[37:38], v[11:12]
	ds_load_b128 v[0:3], v4 offset:3072
	ds_load_b128 v[23:26], v7 offset:96
	;; [unrolled: 1-line block ×4, first 2 shown]
	v_fma_f64 v[29:30], v[29:30], v[31:32], v[43:44]
	v_add_nc_u32_e32 v4, 0x1000, v4
	s_waitcnt lgkmcnt(2)
	v_mul_f64 v[49:50], v[2:3], v[25:26]
	v_mul_f64 v[25:26], v[0:1], v[25:26]
	s_waitcnt lgkmcnt(0)
	v_mul_f64 v[31:32], v[35:36], v[39:40]
	v_mul_f64 v[39:40], v[33:34], v[39:40]
	v_add_f64 v[5:6], v[5:6], v[45:46]
	v_add_f64 v[11:12], v[11:12], v[47:48]
	v_fma_f64 v[0:1], v[0:1], v[23:24], -v[49:50]
	v_fma_f64 v[2:3], v[2:3], v[23:24], v[25:26]
	v_fma_f64 v[23:24], v[33:34], v[37:38], -v[31:32]
	v_fma_f64 v[25:26], v[35:36], v[37:38], v[39:40]
	v_add_f64 v[5:6], v[5:6], v[27:28]
	v_add_f64 v[11:12], v[11:12], v[29:30]
	s_delay_alu instid0(VALU_DEP_2) | instskip(NEXT) | instid1(VALU_DEP_2)
	v_add_f64 v[0:1], v[5:6], v[0:1]
	v_add_f64 v[2:3], v[11:12], v[2:3]
	s_delay_alu instid0(VALU_DEP_2) | instskip(NEXT) | instid1(VALU_DEP_2)
	v_add_f64 v[0:1], v[0:1], v[23:24]
	v_add_f64 v[2:3], v[2:3], v[25:26]
	s_cbranch_scc0 .LBB51_13
; %bb.14:                               ;   in Loop: Header=BB51_7 Depth=2
	global_load_b128 v[4:7], v[9:10], off
	v_mul_f64 v[11:12], s[18:19], v[2:3]
	v_mul_f64 v[23:24], s[18:19], v[0:1]
	s_delay_alu instid0(VALU_DEP_2) | instskip(NEXT) | instid1(VALU_DEP_2)
	v_fma_f64 v[0:1], s[16:17], v[0:1], -v[11:12]
	v_fma_f64 v[2:3], s[16:17], v[2:3], v[23:24]
	s_waitcnt vmcnt(0)
	s_delay_alu instid0(VALU_DEP_2) | instskip(NEXT) | instid1(VALU_DEP_2)
	v_add_f64 v[0:1], v[0:1], v[4:5]
	v_add_f64 v[2:3], v[2:3], v[6:7]
	global_store_b128 v[9:10], v[0:3], off
	s_branch .LBB51_6
.LBB51_15:
	s_endpgm
	.section	.rodata,"a",@progbits
	.p2align	6, 0x0
	.amdhsa_kernel _ZL24rocblas_symm_hemm_kernelILb0ELb0ELi32EPK19rocblas_complex_numIdEPKS3_PKPS1_EvbiiT2_T3_lllSA_lllT4_llli
		.amdhsa_group_segment_fixed_size 32768
		.amdhsa_private_segment_fixed_size 0
		.amdhsa_kernarg_size 384
		.amdhsa_user_sgpr_count 13
		.amdhsa_user_sgpr_dispatch_ptr 0
		.amdhsa_user_sgpr_queue_ptr 0
		.amdhsa_user_sgpr_kernarg_segment_ptr 1
		.amdhsa_user_sgpr_dispatch_id 0
		.amdhsa_user_sgpr_private_segment_size 0
		.amdhsa_wavefront_size32 1
		.amdhsa_uses_dynamic_stack 0
		.amdhsa_enable_private_segment 0
		.amdhsa_system_sgpr_workgroup_id_x 1
		.amdhsa_system_sgpr_workgroup_id_y 1
		.amdhsa_system_sgpr_workgroup_id_z 1
		.amdhsa_system_sgpr_workgroup_info 0
		.amdhsa_system_vgpr_workitem_id 1
		.amdhsa_next_free_vgpr 51
		.amdhsa_next_free_sgpr 32
		.amdhsa_reserve_vcc 1
		.amdhsa_float_round_mode_32 0
		.amdhsa_float_round_mode_16_64 0
		.amdhsa_float_denorm_mode_32 3
		.amdhsa_float_denorm_mode_16_64 3
		.amdhsa_dx10_clamp 1
		.amdhsa_ieee_mode 1
		.amdhsa_fp16_overflow 0
		.amdhsa_workgroup_processor_mode 1
		.amdhsa_memory_ordered 1
		.amdhsa_forward_progress 0
		.amdhsa_shared_vgpr_count 0
		.amdhsa_exception_fp_ieee_invalid_op 0
		.amdhsa_exception_fp_denorm_src 0
		.amdhsa_exception_fp_ieee_div_zero 0
		.amdhsa_exception_fp_ieee_overflow 0
		.amdhsa_exception_fp_ieee_underflow 0
		.amdhsa_exception_fp_ieee_inexact 0
		.amdhsa_exception_int_div_zero 0
	.end_amdhsa_kernel
	.section	.text._ZL24rocblas_symm_hemm_kernelILb0ELb0ELi32EPK19rocblas_complex_numIdEPKS3_PKPS1_EvbiiT2_T3_lllSA_lllT4_llli,"axG",@progbits,_ZL24rocblas_symm_hemm_kernelILb0ELb0ELi32EPK19rocblas_complex_numIdEPKS3_PKPS1_EvbiiT2_T3_lllSA_lllT4_llli,comdat
.Lfunc_end51:
	.size	_ZL24rocblas_symm_hemm_kernelILb0ELb0ELi32EPK19rocblas_complex_numIdEPKS3_PKPS1_EvbiiT2_T3_lllSA_lllT4_llli, .Lfunc_end51-_ZL24rocblas_symm_hemm_kernelILb0ELb0ELi32EPK19rocblas_complex_numIdEPKS3_PKPS1_EvbiiT2_T3_lllSA_lllT4_llli
                                        ; -- End function
	.section	.AMDGPU.csdata,"",@progbits
; Kernel info:
; codeLenInByte = 1628
; NumSgprs: 34
; NumVgprs: 51
; ScratchSize: 0
; MemoryBound: 1
; FloatMode: 240
; IeeeMode: 1
; LDSByteSize: 32768 bytes/workgroup (compile time only)
; SGPRBlocks: 4
; VGPRBlocks: 6
; NumSGPRsForWavesPerEU: 34
; NumVGPRsForWavesPerEU: 51
; Occupancy: 16
; WaveLimiterHint : 1
; COMPUTE_PGM_RSRC2:SCRATCH_EN: 0
; COMPUTE_PGM_RSRC2:USER_SGPR: 13
; COMPUTE_PGM_RSRC2:TRAP_HANDLER: 0
; COMPUTE_PGM_RSRC2:TGID_X_EN: 1
; COMPUTE_PGM_RSRC2:TGID_Y_EN: 1
; COMPUTE_PGM_RSRC2:TGID_Z_EN: 1
; COMPUTE_PGM_RSRC2:TIDIG_COMP_CNT: 1
	.section	.text._ZL24rocblas_symm_hemm_kernelILb0ELb1ELi32EPK19rocblas_complex_numIdEPKS3_PKPS1_EvbiiT2_T3_lllSA_lllT4_llli,"axG",@progbits,_ZL24rocblas_symm_hemm_kernelILb0ELb1ELi32EPK19rocblas_complex_numIdEPKS3_PKPS1_EvbiiT2_T3_lllSA_lllT4_llli,comdat
	.globl	_ZL24rocblas_symm_hemm_kernelILb0ELb1ELi32EPK19rocblas_complex_numIdEPKS3_PKPS1_EvbiiT2_T3_lllSA_lllT4_llli ; -- Begin function _ZL24rocblas_symm_hemm_kernelILb0ELb1ELi32EPK19rocblas_complex_numIdEPKS3_PKPS1_EvbiiT2_T3_lllSA_lllT4_llli
	.p2align	8
	.type	_ZL24rocblas_symm_hemm_kernelILb0ELb1ELi32EPK19rocblas_complex_numIdEPKS3_PKPS1_EvbiiT2_T3_lllSA_lllT4_llli,@function
_ZL24rocblas_symm_hemm_kernelILb0ELb1ELi32EPK19rocblas_complex_numIdEPKS3_PKPS1_EvbiiT2_T3_lllSA_lllT4_llli: ; @_ZL24rocblas_symm_hemm_kernelILb0ELb1ELi32EPK19rocblas_complex_numIdEPKS3_PKPS1_EvbiiT2_T3_lllSA_lllT4_llli
; %bb.0:
	s_load_b256 s[4:11], s[0:1], 0x10
	s_waitcnt lgkmcnt(0)
	s_load_b128 s[16:19], s[4:5], 0x0
	s_waitcnt lgkmcnt(0)
	v_cmp_eq_f64_e64 s3, s[16:17], 0
	v_cmp_eq_f64_e64 s4, s[18:19], 0
	s_delay_alu instid0(VALU_DEP_1) | instskip(NEXT) | instid1(SALU_CYCLE_1)
	s_and_b32 s3, s3, s4
	s_and_b32 vcc_lo, exec_lo, s3
	s_cbranch_vccnz .LBB52_15
; %bb.1:
	s_load_b128 s[20:23], s[0:1], 0x0
	s_waitcnt lgkmcnt(0)
	s_add_i32 s3, s22, -1
	s_delay_alu instid0(SALU_CYCLE_1) | instskip(NEXT) | instid1(SALU_CYCLE_1)
	s_ashr_i32 s4, s3, 31
	s_lshr_b32 s4, s4, 27
	s_delay_alu instid0(SALU_CYCLE_1) | instskip(NEXT) | instid1(SALU_CYCLE_1)
	s_add_i32 s3, s3, s4
	s_ashr_i32 s12, s3, 5
	s_delay_alu instid0(SALU_CYCLE_1)
	s_cmp_gt_i32 s14, s12
	s_cbranch_scc1 .LBB52_15
; %bb.2:
	s_mov_b32 s2, s15
	s_mov_b32 s3, 0
	v_and_b32_e32 v12, 0x3ff, v0
	s_lshl_b64 s[30:31], s[2:3], 3
	v_bfe_u32 v13, v0, 10, 10
	s_add_u32 s2, s6, s30
	s_addc_u32 s3, s7, s31
	s_load_b64 s[34:35], s[2:3], 0x0
	s_clause 0x2
	s_load_b128 s[4:7], s[0:1], 0x38
	s_load_b128 s[24:27], s[0:1], 0x58
	s_load_b64 s[28:29], s[0:1], 0x48
	s_lshl_b64 s[36:37], s[8:9], 4
	v_lshl_add_u32 v0, s13, 5, v12
	s_load_b64 s[8:9], s[0:1], 0x68
	v_lshlrev_b32_e32 v2, 4, v13
	v_lshlrev_b32_e32 v14, 9, v12
	s_delay_alu instid0(VALU_DEP_3) | instskip(NEXT) | instid1(VALU_DEP_3)
	v_ashrrev_i32_e32 v1, 31, v0
	v_or_b32_e32 v16, 0x4000, v2
	s_delay_alu instid0(VALU_DEP_3) | instskip(NEXT) | instid1(VALU_DEP_2)
	v_add_nc_u32_e32 v15, v14, v2
	v_add_nc_u32_e32 v17, v16, v14
	s_waitcnt lgkmcnt(0)
	s_add_u32 s3, s34, s36
	s_addc_u32 s15, s35, s37
	s_add_u32 s4, s4, s30
	s_addc_u32 s5, s5, s31
	;; [unrolled: 2-line block ×3, first 2 shown]
	s_load_b64 s[30:31], s[4:5], 0x0
	s_load_b32 s4, s[0:1], 0x84
	s_load_b64 s[24:25], s[24:25], 0x0
	v_cmp_gt_i32_e64 s0, s21, v0
	s_bitcmp1_b32 s20, 0
	v_lshlrev_b64 v[0:1], 4, v[0:1]
	s_cselect_b32 s1, -1, 0
	s_lshl_b64 s[20:21], s[26:27], 4
	s_waitcnt lgkmcnt(0)
	s_add_u32 s2, s24, s20
	s_addc_u32 s5, s25, s21
	s_lshl_b64 s[6:7], s[6:7], 4
	v_add_co_u32 v18, vcc_lo, s2, v0
	s_add_u32 s6, s30, s6
	v_add_co_ci_u32_e32 v19, vcc_lo, s5, v1, vcc_lo
	s_addc_u32 s2, s31, s7
	v_add_co_u32 v20, vcc_lo, s6, v0
	v_add_co_ci_u32_e32 v21, vcc_lo, s2, v1, vcc_lo
	s_cmp_gt_i32 s22, 0
	s_cselect_b32 s5, -1, 0
	s_branch .LBB52_4
.LBB52_3:                               ;   in Loop: Header=BB52_4 Depth=1
	s_add_i32 s14, s14, s4
	s_delay_alu instid0(SALU_CYCLE_1)
	s_cmp_gt_i32 s14, s12
	s_cbranch_scc1 .LBB52_15
.LBB52_4:                               ; =>This Loop Header: Depth=1
                                        ;     Child Loop BB52_7 Depth 2
                                        ;       Child Loop BB52_13 Depth 3
	s_and_not1_b32 vcc_lo, exec_lo, s5
	s_cbranch_vccnz .LBB52_3
; %bb.5:                                ;   in Loop: Header=BB52_4 Depth=1
	v_lshl_add_u32 v22, s14, 5, v13
	s_mov_b32 s6, 0
	s_delay_alu instid0(VALU_DEP_1) | instskip(SKIP_3) | instid1(VALU_DEP_4)
	v_ashrrev_i32_e32 v2, 31, v22
	v_mul_lo_u32 v3, v22, s9
	v_mad_u64_u32 v[0:1], null, v22, s8, 0
	v_cmp_gt_i32_e32 vcc_lo, s22, v22
	v_mul_lo_u32 v2, v2, s8
	s_delay_alu instid0(VALU_DEP_1) | instskip(NEXT) | instid1(VALU_DEP_1)
	v_add3_u32 v1, v1, v3, v2
	v_lshlrev_b64 v[0:1], 4, v[0:1]
	s_delay_alu instid0(VALU_DEP_1) | instskip(NEXT) | instid1(VALU_DEP_1)
	v_add_co_u32 v8, s2, v18, v0
	v_add_co_ci_u32_e64 v9, s2, v19, v1, s2
	s_and_b32 s2, s0, vcc_lo
	s_branch .LBB52_7
.LBB52_6:                               ;   in Loop: Header=BB52_7 Depth=2
	s_or_b32 exec_lo, exec_lo, s7
	s_add_i32 s6, s6, 32
	s_waitcnt_vscnt null, 0x0
	s_cmp_ge_i32 s6, s22
	s_barrier
	buffer_gl0_inv
	s_cbranch_scc1 .LBB52_3
.LBB52_7:                               ;   Parent Loop BB52_4 Depth=1
                                        ; =>  This Loop Header: Depth=2
                                        ;       Child Loop BB52_13 Depth 3
	v_add_nc_u32_e32 v2, s6, v13
	v_mov_b32_e32 v0, 0
	v_mov_b32_e32 v1, 0
	s_delay_alu instid0(VALU_DEP_3) | instskip(NEXT) | instid1(VALU_DEP_2)
	v_cmp_gt_i32_e32 vcc_lo, s22, v2
	v_dual_mov_b32 v5, v1 :: v_dual_mov_b32 v4, v0
	v_dual_mov_b32 v7, v1 :: v_dual_mov_b32 v6, v0
	s_and_b32 s13, s0, vcc_lo
	s_delay_alu instid0(SALU_CYCLE_1)
	s_and_saveexec_b32 s7, s13
	s_cbranch_execz .LBB52_9
; %bb.8:                                ;   in Loop: Header=BB52_7 Depth=2
	v_ashrrev_i32_e32 v5, 31, v2
	v_mul_lo_u32 v6, v2, s29
	v_mad_u64_u32 v[3:4], null, v2, s28, 0
	s_delay_alu instid0(VALU_DEP_3) | instskip(NEXT) | instid1(VALU_DEP_1)
	v_mul_lo_u32 v2, v5, s28
	v_add3_u32 v4, v4, v6, v2
	s_delay_alu instid0(VALU_DEP_1) | instskip(NEXT) | instid1(VALU_DEP_1)
	v_lshlrev_b64 v[2:3], 4, v[3:4]
	v_add_co_u32 v2, vcc_lo, v20, v2
	s_delay_alu instid0(VALU_DEP_2)
	v_add_co_ci_u32_e32 v3, vcc_lo, v21, v3, vcc_lo
	global_load_b128 v[4:7], v[2:3], off
.LBB52_9:                               ;   in Loop: Header=BB52_7 Depth=2
	s_or_b32 exec_lo, exec_lo, s7
	v_add_nc_u32_e32 v2, s6, v12
	s_waitcnt vmcnt(0)
	ds_store_b128 v15, v[4:7]
	v_cndmask_b32_e64 v3, v22, v2, s1
	v_cndmask_b32_e64 v10, v2, v22, s1
	s_delay_alu instid0(VALU_DEP_1) | instskip(SKIP_2) | instid1(VALU_DEP_1)
	v_cmp_gt_i32_e32 vcc_lo, v3, v10
	v_cndmask_b32_e32 v10, v2, v22, vcc_lo
	v_cndmask_b32_e32 v11, v22, v2, vcc_lo
	v_max_i32_e32 v2, v10, v11
	s_delay_alu instid0(VALU_DEP_1)
	v_cmp_gt_i32_e32 vcc_lo, s22, v2
	v_dual_mov_b32 v3, v1 :: v_dual_mov_b32 v2, v0
	s_and_saveexec_b32 s7, vcc_lo
	s_cbranch_execz .LBB52_11
; %bb.10:                               ;   in Loop: Header=BB52_7 Depth=2
	v_ashrrev_i32_e32 v2, 31, v11
	v_mul_lo_u32 v3, v11, s11
	v_mad_u64_u32 v[0:1], null, v11, s10, 0
	v_ashrrev_i32_e32 v11, 31, v10
	s_delay_alu instid0(VALU_DEP_4) | instskip(NEXT) | instid1(VALU_DEP_1)
	v_mul_lo_u32 v2, v2, s10
	v_add3_u32 v1, v1, v3, v2
	s_delay_alu instid0(VALU_DEP_3) | instskip(NEXT) | instid1(VALU_DEP_2)
	v_lshlrev_b64 v[2:3], 4, v[10:11]
	v_lshlrev_b64 v[0:1], 4, v[0:1]
	s_delay_alu instid0(VALU_DEP_1) | instskip(NEXT) | instid1(VALU_DEP_2)
	v_add_co_u32 v0, vcc_lo, s3, v0
	v_add_co_ci_u32_e32 v1, vcc_lo, s15, v1, vcc_lo
	s_delay_alu instid0(VALU_DEP_2) | instskip(NEXT) | instid1(VALU_DEP_2)
	v_add_co_u32 v0, vcc_lo, v0, v2
	v_add_co_ci_u32_e32 v1, vcc_lo, v1, v3, vcc_lo
	global_load_b128 v[0:3], v[0:1], off
.LBB52_11:                              ;   in Loop: Header=BB52_7 Depth=2
	s_or_b32 exec_lo, exec_lo, s7
	s_waitcnt vmcnt(0)
	ds_store_b128 v17, v[0:3]
	s_waitcnt lgkmcnt(0)
	s_barrier
	buffer_gl0_inv
	s_and_saveexec_b32 s7, s2
	s_cbranch_execz .LBB52_6
; %bb.12:                               ;   in Loop: Header=BB52_7 Depth=2
	v_mov_b32_e32 v0, 0
	v_dual_mov_b32 v1, 0 :: v_dual_mov_b32 v4, v16
	s_mov_b32 s13, 0
	s_delay_alu instid0(VALU_DEP_1)
	v_dual_mov_b32 v3, v1 :: v_dual_mov_b32 v2, v0
.LBB52_13:                              ;   Parent Loop BB52_4 Depth=1
                                        ;     Parent Loop BB52_7 Depth=2
                                        ; =>    This Inner Loop Header: Depth=3
	v_add_nc_u32_e32 v7, s13, v14
	s_addk_i32 s13, 0x80
	ds_load_b128 v[23:26], v4
	ds_load_b128 v[27:30], v7
	ds_load_b128 v[31:34], v4 offset:512
	ds_load_b128 v[35:38], v7 offset:16
	s_cmpk_eq_i32 s13, 0x200
	s_waitcnt lgkmcnt(2)
	v_mul_f64 v[5:6], v[25:26], v[29:30]
	v_mul_f64 v[10:11], v[23:24], v[29:30]
	s_waitcnt lgkmcnt(0)
	v_mul_f64 v[45:46], v[33:34], v[37:38]
	v_mul_f64 v[47:48], v[31:32], v[37:38]
	s_delay_alu instid0(VALU_DEP_4) | instskip(NEXT) | instid1(VALU_DEP_4)
	v_fma_f64 v[5:6], v[23:24], v[27:28], -v[5:6]
	v_fma_f64 v[10:11], v[25:26], v[27:28], v[10:11]
	ds_load_b128 v[23:26], v4 offset:1024
	ds_load_b128 v[27:30], v7 offset:32
	;; [unrolled: 1-line block ×4, first 2 shown]
	v_fma_f64 v[31:32], v[31:32], v[35:36], -v[45:46]
	v_fma_f64 v[33:34], v[33:34], v[35:36], v[47:48]
	s_waitcnt lgkmcnt(2)
	v_mul_f64 v[49:50], v[25:26], v[29:30]
	v_mul_f64 v[29:30], v[23:24], v[29:30]
	v_add_f64 v[0:1], v[0:1], v[5:6]
	v_add_f64 v[2:3], v[2:3], v[10:11]
	s_waitcnt lgkmcnt(0)
	v_mul_f64 v[5:6], v[39:40], v[43:44]
	v_mul_f64 v[10:11], v[37:38], v[43:44]
	v_fma_f64 v[35:36], v[23:24], v[27:28], -v[49:50]
	v_fma_f64 v[43:44], v[25:26], v[27:28], v[29:30]
	v_add_f64 v[45:46], v[0:1], v[31:32]
	v_add_f64 v[47:48], v[2:3], v[33:34]
	ds_load_b128 v[0:3], v4 offset:2048
	ds_load_b128 v[23:26], v7 offset:64
	ds_load_b128 v[27:30], v4 offset:2560
	ds_load_b128 v[31:34], v7 offset:80
	v_fma_f64 v[5:6], v[37:38], v[41:42], -v[5:6]
	v_fma_f64 v[10:11], v[39:40], v[41:42], v[10:11]
	s_waitcnt lgkmcnt(2)
	v_mul_f64 v[49:50], v[2:3], v[25:26]
	v_mul_f64 v[25:26], v[0:1], v[25:26]
	s_waitcnt lgkmcnt(0)
	v_mul_f64 v[41:42], v[29:30], v[33:34]
	v_add_f64 v[35:36], v[45:46], v[35:36]
	v_add_f64 v[37:38], v[47:48], v[43:44]
	v_mul_f64 v[43:44], v[27:28], v[33:34]
	v_fma_f64 v[45:46], v[0:1], v[23:24], -v[49:50]
	v_fma_f64 v[47:48], v[2:3], v[23:24], v[25:26]
	v_fma_f64 v[27:28], v[27:28], v[31:32], -v[41:42]
	v_add_f64 v[5:6], v[35:36], v[5:6]
	v_add_f64 v[10:11], v[37:38], v[10:11]
	ds_load_b128 v[0:3], v4 offset:3072
	ds_load_b128 v[23:26], v7 offset:96
	;; [unrolled: 1-line block ×4, first 2 shown]
	v_fma_f64 v[29:30], v[29:30], v[31:32], v[43:44]
	v_add_nc_u32_e32 v4, 0x1000, v4
	s_waitcnt lgkmcnt(2)
	v_mul_f64 v[49:50], v[2:3], v[25:26]
	v_mul_f64 v[25:26], v[0:1], v[25:26]
	s_waitcnt lgkmcnt(0)
	v_mul_f64 v[31:32], v[35:36], v[39:40]
	v_mul_f64 v[39:40], v[33:34], v[39:40]
	v_add_f64 v[5:6], v[5:6], v[45:46]
	v_add_f64 v[10:11], v[10:11], v[47:48]
	v_fma_f64 v[0:1], v[0:1], v[23:24], -v[49:50]
	v_fma_f64 v[2:3], v[2:3], v[23:24], v[25:26]
	v_fma_f64 v[23:24], v[33:34], v[37:38], -v[31:32]
	v_fma_f64 v[25:26], v[35:36], v[37:38], v[39:40]
	v_add_f64 v[5:6], v[5:6], v[27:28]
	v_add_f64 v[10:11], v[10:11], v[29:30]
	s_delay_alu instid0(VALU_DEP_2) | instskip(NEXT) | instid1(VALU_DEP_2)
	v_add_f64 v[0:1], v[5:6], v[0:1]
	v_add_f64 v[2:3], v[10:11], v[2:3]
	s_delay_alu instid0(VALU_DEP_2) | instskip(NEXT) | instid1(VALU_DEP_2)
	v_add_f64 v[0:1], v[0:1], v[23:24]
	v_add_f64 v[2:3], v[2:3], v[25:26]
	s_cbranch_scc0 .LBB52_13
; %bb.14:                               ;   in Loop: Header=BB52_7 Depth=2
	global_load_b128 v[4:7], v[8:9], off
	v_mul_f64 v[10:11], s[18:19], v[2:3]
	v_mul_f64 v[23:24], s[18:19], v[0:1]
	s_delay_alu instid0(VALU_DEP_2) | instskip(NEXT) | instid1(VALU_DEP_2)
	v_fma_f64 v[0:1], s[16:17], v[0:1], -v[10:11]
	v_fma_f64 v[2:3], s[16:17], v[2:3], v[23:24]
	s_waitcnt vmcnt(0)
	s_delay_alu instid0(VALU_DEP_2) | instskip(NEXT) | instid1(VALU_DEP_2)
	v_add_f64 v[0:1], v[0:1], v[4:5]
	v_add_f64 v[2:3], v[2:3], v[6:7]
	global_store_b128 v[8:9], v[0:3], off
	s_branch .LBB52_6
.LBB52_15:
	s_endpgm
	.section	.rodata,"a",@progbits
	.p2align	6, 0x0
	.amdhsa_kernel _ZL24rocblas_symm_hemm_kernelILb0ELb1ELi32EPK19rocblas_complex_numIdEPKS3_PKPS1_EvbiiT2_T3_lllSA_lllT4_llli
		.amdhsa_group_segment_fixed_size 32768
		.amdhsa_private_segment_fixed_size 0
		.amdhsa_kernarg_size 384
		.amdhsa_user_sgpr_count 13
		.amdhsa_user_sgpr_dispatch_ptr 0
		.amdhsa_user_sgpr_queue_ptr 0
		.amdhsa_user_sgpr_kernarg_segment_ptr 1
		.amdhsa_user_sgpr_dispatch_id 0
		.amdhsa_user_sgpr_private_segment_size 0
		.amdhsa_wavefront_size32 1
		.amdhsa_uses_dynamic_stack 0
		.amdhsa_enable_private_segment 0
		.amdhsa_system_sgpr_workgroup_id_x 1
		.amdhsa_system_sgpr_workgroup_id_y 1
		.amdhsa_system_sgpr_workgroup_id_z 1
		.amdhsa_system_sgpr_workgroup_info 0
		.amdhsa_system_vgpr_workitem_id 1
		.amdhsa_next_free_vgpr 51
		.amdhsa_next_free_sgpr 38
		.amdhsa_reserve_vcc 1
		.amdhsa_float_round_mode_32 0
		.amdhsa_float_round_mode_16_64 0
		.amdhsa_float_denorm_mode_32 3
		.amdhsa_float_denorm_mode_16_64 3
		.amdhsa_dx10_clamp 1
		.amdhsa_ieee_mode 1
		.amdhsa_fp16_overflow 0
		.amdhsa_workgroup_processor_mode 1
		.amdhsa_memory_ordered 1
		.amdhsa_forward_progress 0
		.amdhsa_shared_vgpr_count 0
		.amdhsa_exception_fp_ieee_invalid_op 0
		.amdhsa_exception_fp_denorm_src 0
		.amdhsa_exception_fp_ieee_div_zero 0
		.amdhsa_exception_fp_ieee_overflow 0
		.amdhsa_exception_fp_ieee_underflow 0
		.amdhsa_exception_fp_ieee_inexact 0
		.amdhsa_exception_int_div_zero 0
	.end_amdhsa_kernel
	.section	.text._ZL24rocblas_symm_hemm_kernelILb0ELb1ELi32EPK19rocblas_complex_numIdEPKS3_PKPS1_EvbiiT2_T3_lllSA_lllT4_llli,"axG",@progbits,_ZL24rocblas_symm_hemm_kernelILb0ELb1ELi32EPK19rocblas_complex_numIdEPKS3_PKPS1_EvbiiT2_T3_lllSA_lllT4_llli,comdat
.Lfunc_end52:
	.size	_ZL24rocblas_symm_hemm_kernelILb0ELb1ELi32EPK19rocblas_complex_numIdEPKS3_PKPS1_EvbiiT2_T3_lllSA_lllT4_llli, .Lfunc_end52-_ZL24rocblas_symm_hemm_kernelILb0ELb1ELi32EPK19rocblas_complex_numIdEPKS3_PKPS1_EvbiiT2_T3_lllSA_lllT4_llli
                                        ; -- End function
	.section	.AMDGPU.csdata,"",@progbits
; Kernel info:
; codeLenInByte = 1572
; NumSgprs: 40
; NumVgprs: 51
; ScratchSize: 0
; MemoryBound: 1
; FloatMode: 240
; IeeeMode: 1
; LDSByteSize: 32768 bytes/workgroup (compile time only)
; SGPRBlocks: 4
; VGPRBlocks: 6
; NumSGPRsForWavesPerEU: 40
; NumVGPRsForWavesPerEU: 51
; Occupancy: 16
; WaveLimiterHint : 1
; COMPUTE_PGM_RSRC2:SCRATCH_EN: 0
; COMPUTE_PGM_RSRC2:USER_SGPR: 13
; COMPUTE_PGM_RSRC2:TRAP_HANDLER: 0
; COMPUTE_PGM_RSRC2:TGID_X_EN: 1
; COMPUTE_PGM_RSRC2:TGID_Y_EN: 1
; COMPUTE_PGM_RSRC2:TGID_Z_EN: 1
; COMPUTE_PGM_RSRC2:TIDIG_COMP_CNT: 1
	.section	.text._ZL25rocblas_symm_scale_kernelILi128ELi8E19rocblas_complex_numIdEPKPS1_EviiT1_T2_llli,"axG",@progbits,_ZL25rocblas_symm_scale_kernelILi128ELi8E19rocblas_complex_numIdEPKPS1_EviiT1_T2_llli,comdat
	.globl	_ZL25rocblas_symm_scale_kernelILi128ELi8E19rocblas_complex_numIdEPKPS1_EviiT1_T2_llli ; -- Begin function _ZL25rocblas_symm_scale_kernelILi128ELi8E19rocblas_complex_numIdEPKPS1_EviiT1_T2_llli
	.p2align	8
	.type	_ZL25rocblas_symm_scale_kernelILi128ELi8E19rocblas_complex_numIdEPKPS1_EviiT1_T2_llli,@function
_ZL25rocblas_symm_scale_kernelILi128ELi8E19rocblas_complex_numIdEPKPS1_EviiT1_T2_llli: ; @_ZL25rocblas_symm_scale_kernelILi128ELi8E19rocblas_complex_numIdEPKPS1_EviiT1_T2_llli
; %bb.0:
	s_load_b256 s[4:11], s[0:1], 0x8
	s_waitcnt lgkmcnt(0)
	v_cmp_eq_f64_e64 s2, s[4:5], 1.0
	v_cmp_eq_f64_e64 s3, s[6:7], 0
	s_delay_alu instid0(VALU_DEP_1) | instskip(NEXT) | instid1(SALU_CYCLE_1)
	s_and_b32 s2, s2, s3
	s_and_b32 vcc_lo, exec_lo, s2
	s_cbranch_vccnz .LBB53_6
; %bb.1:
	s_load_b64 s[2:3], s[0:1], 0x0
	v_bfe_u32 v1, v0, 10, 10
	v_dual_mov_b32 v5, 0 :: v_dual_and_b32 v0, 0x3ff, v0
	s_mov_b32 s12, s15
	s_delay_alu instid0(VALU_DEP_2) | instskip(NEXT) | instid1(VALU_DEP_2)
	v_lshl_add_u32 v4, s14, 3, v1
	v_lshl_add_u32 v0, s13, 7, v0
	s_waitcnt lgkmcnt(0)
	s_ashr_i32 s15, s3, 31
	s_mov_b32 s14, s3
	s_delay_alu instid0(VALU_DEP_1) | instskip(SKIP_1) | instid1(VALU_DEP_2)
	v_cmp_gt_u32_e64 s2, s2, v0
	v_cmp_gt_i64_e32 vcc_lo, s[14:15], v[4:5]
	s_and_b32 s2, s2, vcc_lo
	s_delay_alu instid0(SALU_CYCLE_1)
	s_and_saveexec_b32 s3, s2
	s_cbranch_execz .LBB53_6
; %bb.2:
	s_clause 0x1
	s_load_b64 s[2:3], s[0:1], 0x28
	s_load_b32 s16, s[0:1], 0x44
	v_cmp_neq_f64_e64 s17, s[4:5], 0
	v_cmp_neq_f64_e64 s18, s[6:7], 0
	s_mov_b32 s13, 0
	s_delay_alu instid0(SALU_CYCLE_1) | instskip(NEXT) | instid1(SALU_CYCLE_1)
	s_lshl_b64 s[0:1], s[12:13], 3
	s_add_u32 s0, s8, s0
	s_addc_u32 s1, s9, s1
	s_lshl_b64 s[10:11], s[10:11], 4
	s_load_b64 s[8:9], s[0:1], 0x0
	s_waitcnt lgkmcnt(0)
	v_mad_u64_u32 v[2:3], null, s2, v4, 0
	s_lshl_b32 s1, s16, 3
	s_delay_alu instid0(SALU_CYCLE_1) | instskip(NEXT) | instid1(VALU_DEP_1)
	s_mul_i32 s0, s3, s1
	v_mov_b32_e32 v1, v3
	s_delay_alu instid0(VALU_DEP_1) | instskip(SKIP_4) | instid1(VALU_DEP_1)
	v_mad_u64_u32 v[6:7], null, s3, v4, v[1:2]
	v_mov_b32_e32 v1, v5
	s_mul_hi_u32 s3, s2, s1
	s_mul_i32 s2, s2, s1
	s_add_i32 s3, s3, s0
	v_lshlrev_b64 v[0:1], 4, v[0:1]
	s_delay_alu instid0(VALU_DEP_3) | instskip(SKIP_1) | instid1(VALU_DEP_1)
	v_mov_b32_e32 v3, v6
	s_lshl_b64 s[2:3], s[2:3], 4
	v_lshlrev_b64 v[2:3], 4, v[2:3]
	s_delay_alu instid0(VALU_DEP_1) | instskip(NEXT) | instid1(VALU_DEP_2)
	v_add_co_u32 v2, vcc_lo, v2, s10
	v_add_co_ci_u32_e32 v3, vcc_lo, s11, v3, vcc_lo
	s_delay_alu instid0(VALU_DEP_2) | instskip(NEXT) | instid1(VALU_DEP_2)
	v_add_co_u32 v0, vcc_lo, v2, v0
	v_add_co_ci_u32_e32 v1, vcc_lo, v3, v1, vcc_lo
	s_delay_alu instid0(VALU_DEP_2) | instskip(NEXT) | instid1(VALU_DEP_2)
	v_add_co_u32 v0, vcc_lo, v0, s8
	v_add_co_ci_u32_e32 v1, vcc_lo, s9, v1, vcc_lo
	s_or_b32 s8, s17, s18
	s_delay_alu instid0(VALU_DEP_2) | instskip(NEXT) | instid1(VALU_DEP_2)
	v_add_co_u32 v6, vcc_lo, v0, 8
	v_add_co_ci_u32_e32 v7, vcc_lo, 0, v1, vcc_lo
	s_set_inst_prefetch_distance 0x1
	s_branch .LBB53_4
	.p2align	6
.LBB53_3:                               ;   in Loop: Header=BB53_4 Depth=1
	v_add_co_u32 v4, vcc_lo, v4, s1
	v_add_co_ci_u32_e32 v5, vcc_lo, 0, v5, vcc_lo
	global_store_b128 v[6:7], v[0:3], off offset:-8
	v_add_co_u32 v6, s0, v6, s2
	v_cmp_le_i64_e32 vcc_lo, s[14:15], v[4:5]
	v_add_co_ci_u32_e64 v7, s0, s3, v7, s0
	s_or_b32 s13, vcc_lo, s13
	s_delay_alu instid0(SALU_CYCLE_1)
	s_and_not1_b32 exec_lo, exec_lo, s13
	s_cbranch_execz .LBB53_6
.LBB53_4:                               ; =>This Inner Loop Header: Depth=1
	v_mov_b32_e32 v2, 0
	v_mov_b32_e32 v3, 0
	s_delay_alu instid0(VALU_DEP_2) | instskip(SKIP_1) | instid1(VALU_DEP_2)
	v_mov_b32_e32 v0, v2
	s_and_not1_b32 vcc_lo, exec_lo, s8
	v_mov_b32_e32 v1, v3
	s_cbranch_vccnz .LBB53_3
; %bb.5:                                ;   in Loop: Header=BB53_4 Depth=1
	global_load_b128 v[8:11], v[6:7], off offset:-8
	s_waitcnt vmcnt(0)
	v_mul_f64 v[0:1], s[6:7], v[10:11]
	v_mul_f64 v[2:3], s[4:5], v[10:11]
	s_delay_alu instid0(VALU_DEP_2) | instskip(NEXT) | instid1(VALU_DEP_2)
	v_fma_f64 v[0:1], s[4:5], v[8:9], -v[0:1]
	v_fma_f64 v[2:3], s[6:7], v[8:9], v[2:3]
	s_branch .LBB53_3
.LBB53_6:
	s_set_inst_prefetch_distance 0x2
	s_nop 0
	s_sendmsg sendmsg(MSG_DEALLOC_VGPRS)
	s_endpgm
	.section	.rodata,"a",@progbits
	.p2align	6, 0x0
	.amdhsa_kernel _ZL25rocblas_symm_scale_kernelILi128ELi8E19rocblas_complex_numIdEPKPS1_EviiT1_T2_llli
		.amdhsa_group_segment_fixed_size 0
		.amdhsa_private_segment_fixed_size 0
		.amdhsa_kernarg_size 320
		.amdhsa_user_sgpr_count 13
		.amdhsa_user_sgpr_dispatch_ptr 0
		.amdhsa_user_sgpr_queue_ptr 0
		.amdhsa_user_sgpr_kernarg_segment_ptr 1
		.amdhsa_user_sgpr_dispatch_id 0
		.amdhsa_user_sgpr_private_segment_size 0
		.amdhsa_wavefront_size32 1
		.amdhsa_uses_dynamic_stack 0
		.amdhsa_enable_private_segment 0
		.amdhsa_system_sgpr_workgroup_id_x 1
		.amdhsa_system_sgpr_workgroup_id_y 1
		.amdhsa_system_sgpr_workgroup_id_z 1
		.amdhsa_system_sgpr_workgroup_info 0
		.amdhsa_system_vgpr_workitem_id 1
		.amdhsa_next_free_vgpr 12
		.amdhsa_next_free_sgpr 19
		.amdhsa_reserve_vcc 1
		.amdhsa_float_round_mode_32 0
		.amdhsa_float_round_mode_16_64 0
		.amdhsa_float_denorm_mode_32 3
		.amdhsa_float_denorm_mode_16_64 3
		.amdhsa_dx10_clamp 1
		.amdhsa_ieee_mode 1
		.amdhsa_fp16_overflow 0
		.amdhsa_workgroup_processor_mode 1
		.amdhsa_memory_ordered 1
		.amdhsa_forward_progress 0
		.amdhsa_shared_vgpr_count 0
		.amdhsa_exception_fp_ieee_invalid_op 0
		.amdhsa_exception_fp_denorm_src 0
		.amdhsa_exception_fp_ieee_div_zero 0
		.amdhsa_exception_fp_ieee_overflow 0
		.amdhsa_exception_fp_ieee_underflow 0
		.amdhsa_exception_fp_ieee_inexact 0
		.amdhsa_exception_int_div_zero 0
	.end_amdhsa_kernel
	.section	.text._ZL25rocblas_symm_scale_kernelILi128ELi8E19rocblas_complex_numIdEPKPS1_EviiT1_T2_llli,"axG",@progbits,_ZL25rocblas_symm_scale_kernelILi128ELi8E19rocblas_complex_numIdEPKPS1_EviiT1_T2_llli,comdat
.Lfunc_end53:
	.size	_ZL25rocblas_symm_scale_kernelILi128ELi8E19rocblas_complex_numIdEPKPS1_EviiT1_T2_llli, .Lfunc_end53-_ZL25rocblas_symm_scale_kernelILi128ELi8E19rocblas_complex_numIdEPKPS1_EviiT1_T2_llli
                                        ; -- End function
	.section	.AMDGPU.csdata,"",@progbits
; Kernel info:
; codeLenInByte = 520
; NumSgprs: 21
; NumVgprs: 12
; ScratchSize: 0
; MemoryBound: 0
; FloatMode: 240
; IeeeMode: 1
; LDSByteSize: 0 bytes/workgroup (compile time only)
; SGPRBlocks: 2
; VGPRBlocks: 1
; NumSGPRsForWavesPerEU: 21
; NumVGPRsForWavesPerEU: 12
; Occupancy: 16
; WaveLimiterHint : 0
; COMPUTE_PGM_RSRC2:SCRATCH_EN: 0
; COMPUTE_PGM_RSRC2:USER_SGPR: 13
; COMPUTE_PGM_RSRC2:TRAP_HANDLER: 0
; COMPUTE_PGM_RSRC2:TGID_X_EN: 1
; COMPUTE_PGM_RSRC2:TGID_Y_EN: 1
; COMPUTE_PGM_RSRC2:TGID_Z_EN: 1
; COMPUTE_PGM_RSRC2:TIDIG_COMP_CNT: 1
	.section	.text._ZL24rocblas_symm_hemm_kernelILb0ELb0ELi32E19rocblas_complex_numIdEPKPKS1_PKPS1_EvbiiT2_T3_lllSA_lllT4_llli,"axG",@progbits,_ZL24rocblas_symm_hemm_kernelILb0ELb0ELi32E19rocblas_complex_numIdEPKPKS1_PKPS1_EvbiiT2_T3_lllSA_lllT4_llli,comdat
	.globl	_ZL24rocblas_symm_hemm_kernelILb0ELb0ELi32E19rocblas_complex_numIdEPKPKS1_PKPS1_EvbiiT2_T3_lllSA_lllT4_llli ; -- Begin function _ZL24rocblas_symm_hemm_kernelILb0ELb0ELi32E19rocblas_complex_numIdEPKPKS1_PKPS1_EvbiiT2_T3_lllSA_lllT4_llli
	.p2align	8
	.type	_ZL24rocblas_symm_hemm_kernelILb0ELb0ELi32E19rocblas_complex_numIdEPKPKS1_PKPS1_EvbiiT2_T3_lllSA_lllT4_llli,@function
_ZL24rocblas_symm_hemm_kernelILb0ELb0ELi32E19rocblas_complex_numIdEPKPKS1_PKPS1_EvbiiT2_T3_lllSA_lllT4_llli: ; @_ZL24rocblas_symm_hemm_kernelILb0ELb0ELi32E19rocblas_complex_numIdEPKPKS1_PKPS1_EvbiiT2_T3_lllSA_lllT4_llli
; %bb.0:
	s_load_b256 s[4:11], s[0:1], 0x10
	s_waitcnt lgkmcnt(0)
	v_cmp_eq_f64_e64 s3, s[4:5], 0
	v_cmp_eq_f64_e64 s12, s[6:7], 0
	s_delay_alu instid0(VALU_DEP_1) | instskip(NEXT) | instid1(SALU_CYCLE_1)
	s_and_b32 s3, s3, s12
	s_and_b32 vcc_lo, exec_lo, s3
	s_cbranch_vccnz .LBB54_15
; %bb.1:
	s_load_b128 s[16:19], s[0:1], 0x0
	s_mov_b32 s2, s15
	s_waitcnt lgkmcnt(0)
	s_add_i32 s3, s18, -1
	s_delay_alu instid0(SALU_CYCLE_1) | instskip(NEXT) | instid1(SALU_CYCLE_1)
	s_ashr_i32 s12, s3, 31
	s_lshr_b32 s12, s12, 27
	s_delay_alu instid0(SALU_CYCLE_1) | instskip(NEXT) | instid1(SALU_CYCLE_1)
	s_add_i32 s3, s3, s12
	s_ashr_i32 s15, s3, 5
	s_delay_alu instid0(SALU_CYCLE_1)
	s_cmp_gt_i32 s14, s15
	s_cbranch_scc1 .LBB54_15
; %bb.2:
	s_mov_b32 s3, 0
	v_and_b32_e32 v13, 0x3ff, v0
	s_lshl_b64 s[24:25], s[2:3], 3
	v_bfe_u32 v14, v0, 10, 10
	s_add_u32 s2, s8, s24
	s_addc_u32 s3, s9, s25
	s_lshl_b64 s[10:11], s[10:11], 4
	s_load_b64 s[8:9], s[2:3], 0x0
	s_load_b128 s[20:23], s[0:1], 0x40
	v_lshl_add_u32 v8, s13, 5, v13
	v_lshlrev_b32_e32 v0, 4, v14
	v_lshlrev_b32_e32 v15, 9, v13
	s_delay_alu instid0(VALU_DEP_3) | instskip(NEXT) | instid1(VALU_DEP_3)
	v_ashrrev_i32_e32 v9, 31, v8
	v_or_b32_e32 v17, 0x4000, v0
	s_delay_alu instid0(VALU_DEP_3) | instskip(NEXT) | instid1(VALU_DEP_3)
	v_add_nc_u32_e32 v16, v15, v0
	v_lshlrev_b64 v[0:1], 4, v[8:9]
	s_delay_alu instid0(VALU_DEP_3)
	v_add_nc_u32_e32 v18, v17, v15
	s_waitcnt lgkmcnt(0)
	s_add_u32 s3, s8, s10
	s_addc_u32 s19, s9, s11
	s_add_u32 s8, s20, s24
	s_addc_u32 s9, s21, s25
	s_lshl_b64 s[22:23], s[22:23], 4
	s_load_b64 s[20:21], s[8:9], 0x0
	s_load_b128 s[8:11], s[0:1], 0x60
	s_waitcnt lgkmcnt(0)
	s_add_u32 s22, s20, s22
	s_addc_u32 s23, s21, s23
	s_add_u32 s8, s8, s24
	s_addc_u32 s9, s9, s25
	s_bitcmp1_b32 s16, 0
	s_load_b64 s[26:27], s[8:9], 0x0
	s_clause 0x3
	s_load_b64 s[12:13], s[0:1], 0x50
	s_load_b64 s[20:21], s[0:1], 0x70
	s_load_b32 s24, s[0:1], 0x8c
	s_load_b64 s[8:9], s[0:1], 0x30
	s_cselect_b32 s1, -1, 0
	s_lshl_b64 s[10:11], s[10:11], 4
	v_cmp_gt_i32_e64 s0, s17, v8
	s_waitcnt lgkmcnt(0)
	s_add_u32 s2, s26, s10
	s_addc_u32 s10, s27, s11
	v_add_co_u32 v19, vcc_lo, s2, v0
	v_add_co_ci_u32_e32 v20, vcc_lo, s10, v1, vcc_lo
	s_cmp_gt_i32 s17, 0
	s_cselect_b32 s10, -1, 0
	s_branch .LBB54_4
.LBB54_3:                               ;   in Loop: Header=BB54_4 Depth=1
	s_add_i32 s14, s14, s24
	s_delay_alu instid0(SALU_CYCLE_1)
	s_cmp_gt_i32 s14, s15
	s_cbranch_scc1 .LBB54_15
.LBB54_4:                               ; =>This Loop Header: Depth=1
                                        ;     Child Loop BB54_7 Depth 2
                                        ;       Child Loop BB54_13 Depth 3
	s_and_not1_b32 vcc_lo, exec_lo, s10
	s_cbranch_vccnz .LBB54_3
; %bb.5:                                ;   in Loop: Header=BB54_4 Depth=1
	v_lshl_add_u32 v4, s14, 5, v14
	s_mov_b32 s16, 0
	s_delay_alu instid0(VALU_DEP_1) | instskip(SKIP_3) | instid1(VALU_DEP_4)
	v_ashrrev_i32_e32 v5, 31, v4
	v_mul_lo_u32 v6, v4, s13
	v_mad_u64_u32 v[0:1], null, v4, s12, 0
	v_mul_lo_u32 v9, v4, s21
	v_mul_lo_u32 v7, v5, s12
	v_mad_u64_u32 v[2:3], null, v4, s20, 0
	v_mul_lo_u32 v5, v5, s20
	v_cmp_gt_i32_e32 vcc_lo, s18, v4
	s_delay_alu instid0(VALU_DEP_4) | instskip(SKIP_1) | instid1(VALU_DEP_3)
	v_add3_u32 v1, v1, v6, v7
	s_and_b32 s11, s0, vcc_lo
	v_add3_u32 v3, v3, v9, v5
	s_delay_alu instid0(VALU_DEP_2) | instskip(NEXT) | instid1(VALU_DEP_2)
	v_lshlrev_b64 v[0:1], 4, v[0:1]
	v_lshlrev_b64 v[2:3], 4, v[2:3]
	s_delay_alu instid0(VALU_DEP_2) | instskip(NEXT) | instid1(VALU_DEP_1)
	v_add_co_u32 v21, s2, s22, v0
	v_add_co_ci_u32_e64 v22, s2, s23, v1, s2
	s_delay_alu instid0(VALU_DEP_3) | instskip(NEXT) | instid1(VALU_DEP_1)
	v_add_co_u32 v9, s2, v19, v2
	v_add_co_ci_u32_e64 v10, s2, v20, v3, s2
	s_branch .LBB54_7
.LBB54_6:                               ;   in Loop: Header=BB54_7 Depth=2
	s_or_b32 exec_lo, exec_lo, s2
	s_add_i32 s16, s16, 32
	s_waitcnt_vscnt null, 0x0
	s_cmp_ge_i32 s16, s17
	s_barrier
	buffer_gl0_inv
	s_cbranch_scc1 .LBB54_3
.LBB54_7:                               ;   Parent Loop BB54_4 Depth=1
                                        ; =>  This Loop Header: Depth=2
                                        ;       Child Loop BB54_13 Depth 3
	v_add_nc_u32_e32 v0, s16, v14
	s_delay_alu instid0(VALU_DEP_1) | instskip(SKIP_1) | instid1(VALU_DEP_1)
	v_cndmask_b32_e64 v1, v0, v8, s1
	v_cndmask_b32_e64 v2, v8, v0, s1
	v_cmp_gt_i32_e64 s2, v1, v2
	s_delay_alu instid0(VALU_DEP_1) | instskip(SKIP_3) | instid1(VALU_DEP_3)
	v_cndmask_b32_e64 v2, v8, v0, s2
	v_cndmask_b32_e64 v3, v0, v8, s2
	v_mov_b32_e32 v0, 0
	v_mov_b32_e32 v1, 0
	v_max_i32_e32 v6, v2, v3
	s_delay_alu instid0(VALU_DEP_2) | instskip(NEXT) | instid1(VALU_DEP_2)
	v_dual_mov_b32 v5, v1 :: v_dual_mov_b32 v4, v0
	v_cmp_gt_i32_e64 s2, s17, v6
	v_dual_mov_b32 v7, v1 :: v_dual_mov_b32 v6, v0
	s_delay_alu instid0(VALU_DEP_2)
	s_and_saveexec_b32 s25, s2
	s_cbranch_execz .LBB54_9
; %bb.8:                                ;   in Loop: Header=BB54_7 Depth=2
	v_ashrrev_i32_e32 v6, 31, v3
	v_mul_lo_u32 v7, v3, s9
	v_mad_u64_u32 v[4:5], null, v3, s8, 0
	s_delay_alu instid0(VALU_DEP_3) | instskip(NEXT) | instid1(VALU_DEP_1)
	v_mul_lo_u32 v3, v6, s8
	v_add3_u32 v5, v5, v7, v3
	v_ashrrev_i32_e32 v3, 31, v2
	s_delay_alu instid0(VALU_DEP_2) | instskip(NEXT) | instid1(VALU_DEP_2)
	v_lshlrev_b64 v[4:5], 4, v[4:5]
	v_lshlrev_b64 v[2:3], 4, v[2:3]
	s_delay_alu instid0(VALU_DEP_2) | instskip(NEXT) | instid1(VALU_DEP_1)
	v_add_co_u32 v4, s2, s3, v4
	v_add_co_ci_u32_e64 v5, s2, s19, v5, s2
	s_delay_alu instid0(VALU_DEP_2) | instskip(NEXT) | instid1(VALU_DEP_1)
	v_add_co_u32 v2, s2, v4, v2
	v_add_co_ci_u32_e64 v3, s2, v5, v3, s2
	global_load_b128 v[4:7], v[2:3], off
.LBB54_9:                               ;   in Loop: Header=BB54_7 Depth=2
	s_or_b32 exec_lo, exec_lo, s25
	v_add_nc_u32_e32 v11, s16, v13
	v_dual_mov_b32 v3, v1 :: v_dual_mov_b32 v2, v0
	s_waitcnt vmcnt(0)
	ds_store_b128 v16, v[4:7]
	v_cmp_gt_i32_e64 s2, s17, v11
	s_delay_alu instid0(VALU_DEP_1) | instskip(NEXT) | instid1(SALU_CYCLE_1)
	s_and_b32 s2, s2, vcc_lo
	s_and_saveexec_b32 s25, s2
	s_cbranch_execz .LBB54_11
; %bb.10:                               ;   in Loop: Header=BB54_7 Depth=2
	v_ashrrev_i32_e32 v12, 31, v11
	s_delay_alu instid0(VALU_DEP_1) | instskip(NEXT) | instid1(VALU_DEP_1)
	v_lshlrev_b64 v[0:1], 4, v[11:12]
	v_add_co_u32 v0, s2, v21, v0
	s_delay_alu instid0(VALU_DEP_1)
	v_add_co_ci_u32_e64 v1, s2, v22, v1, s2
	global_load_b128 v[0:3], v[0:1], off
.LBB54_11:                              ;   in Loop: Header=BB54_7 Depth=2
	s_or_b32 exec_lo, exec_lo, s25
	s_waitcnt vmcnt(0)
	ds_store_b128 v18, v[0:3]
	s_waitcnt lgkmcnt(0)
	s_barrier
	buffer_gl0_inv
	s_and_saveexec_b32 s2, s11
	s_cbranch_execz .LBB54_6
; %bb.12:                               ;   in Loop: Header=BB54_7 Depth=2
	v_mov_b32_e32 v0, 0
	v_dual_mov_b32 v1, 0 :: v_dual_mov_b32 v4, v17
	s_mov_b32 s25, 0
	s_delay_alu instid0(VALU_DEP_1)
	v_dual_mov_b32 v3, v1 :: v_dual_mov_b32 v2, v0
.LBB54_13:                              ;   Parent Loop BB54_4 Depth=1
                                        ;     Parent Loop BB54_7 Depth=2
                                        ; =>    This Inner Loop Header: Depth=3
	v_add_nc_u32_e32 v7, s25, v15
	s_addk_i32 s25, 0x80
	ds_load_b128 v[23:26], v4
	ds_load_b128 v[27:30], v7
	ds_load_b128 v[31:34], v4 offset:512
	ds_load_b128 v[35:38], v7 offset:16
	s_cmpk_eq_i32 s25, 0x200
	s_waitcnt lgkmcnt(2)
	v_mul_f64 v[5:6], v[25:26], v[29:30]
	v_mul_f64 v[11:12], v[23:24], v[29:30]
	s_waitcnt lgkmcnt(0)
	v_mul_f64 v[45:46], v[33:34], v[37:38]
	v_mul_f64 v[47:48], v[31:32], v[37:38]
	s_delay_alu instid0(VALU_DEP_4) | instskip(NEXT) | instid1(VALU_DEP_4)
	v_fma_f64 v[5:6], v[23:24], v[27:28], -v[5:6]
	v_fma_f64 v[11:12], v[25:26], v[27:28], v[11:12]
	ds_load_b128 v[23:26], v4 offset:1024
	ds_load_b128 v[27:30], v7 offset:32
	;; [unrolled: 1-line block ×4, first 2 shown]
	v_fma_f64 v[31:32], v[31:32], v[35:36], -v[45:46]
	v_fma_f64 v[33:34], v[33:34], v[35:36], v[47:48]
	s_waitcnt lgkmcnt(2)
	v_mul_f64 v[49:50], v[25:26], v[29:30]
	v_mul_f64 v[29:30], v[23:24], v[29:30]
	v_add_f64 v[0:1], v[0:1], v[5:6]
	v_add_f64 v[2:3], v[2:3], v[11:12]
	s_waitcnt lgkmcnt(0)
	v_mul_f64 v[5:6], v[39:40], v[43:44]
	v_mul_f64 v[11:12], v[37:38], v[43:44]
	v_fma_f64 v[35:36], v[23:24], v[27:28], -v[49:50]
	v_fma_f64 v[43:44], v[25:26], v[27:28], v[29:30]
	v_add_f64 v[45:46], v[0:1], v[31:32]
	v_add_f64 v[47:48], v[2:3], v[33:34]
	ds_load_b128 v[0:3], v4 offset:2048
	ds_load_b128 v[23:26], v7 offset:64
	;; [unrolled: 1-line block ×4, first 2 shown]
	v_fma_f64 v[5:6], v[37:38], v[41:42], -v[5:6]
	v_fma_f64 v[11:12], v[39:40], v[41:42], v[11:12]
	s_waitcnt lgkmcnt(2)
	v_mul_f64 v[49:50], v[2:3], v[25:26]
	v_mul_f64 v[25:26], v[0:1], v[25:26]
	s_waitcnt lgkmcnt(0)
	v_mul_f64 v[41:42], v[29:30], v[33:34]
	v_add_f64 v[35:36], v[45:46], v[35:36]
	v_add_f64 v[37:38], v[47:48], v[43:44]
	v_mul_f64 v[43:44], v[27:28], v[33:34]
	v_fma_f64 v[45:46], v[0:1], v[23:24], -v[49:50]
	v_fma_f64 v[47:48], v[2:3], v[23:24], v[25:26]
	v_fma_f64 v[27:28], v[27:28], v[31:32], -v[41:42]
	v_add_f64 v[5:6], v[35:36], v[5:6]
	v_add_f64 v[11:12], v[37:38], v[11:12]
	ds_load_b128 v[0:3], v4 offset:3072
	ds_load_b128 v[23:26], v7 offset:96
	;; [unrolled: 1-line block ×4, first 2 shown]
	v_fma_f64 v[29:30], v[29:30], v[31:32], v[43:44]
	v_add_nc_u32_e32 v4, 0x1000, v4
	s_waitcnt lgkmcnt(2)
	v_mul_f64 v[49:50], v[2:3], v[25:26]
	v_mul_f64 v[25:26], v[0:1], v[25:26]
	s_waitcnt lgkmcnt(0)
	v_mul_f64 v[31:32], v[35:36], v[39:40]
	v_mul_f64 v[39:40], v[33:34], v[39:40]
	v_add_f64 v[5:6], v[5:6], v[45:46]
	v_add_f64 v[11:12], v[11:12], v[47:48]
	v_fma_f64 v[0:1], v[0:1], v[23:24], -v[49:50]
	v_fma_f64 v[2:3], v[2:3], v[23:24], v[25:26]
	v_fma_f64 v[23:24], v[33:34], v[37:38], -v[31:32]
	v_fma_f64 v[25:26], v[35:36], v[37:38], v[39:40]
	v_add_f64 v[5:6], v[5:6], v[27:28]
	v_add_f64 v[11:12], v[11:12], v[29:30]
	s_delay_alu instid0(VALU_DEP_2) | instskip(NEXT) | instid1(VALU_DEP_2)
	v_add_f64 v[0:1], v[5:6], v[0:1]
	v_add_f64 v[2:3], v[11:12], v[2:3]
	s_delay_alu instid0(VALU_DEP_2) | instskip(NEXT) | instid1(VALU_DEP_2)
	v_add_f64 v[0:1], v[0:1], v[23:24]
	v_add_f64 v[2:3], v[2:3], v[25:26]
	s_cbranch_scc0 .LBB54_13
; %bb.14:                               ;   in Loop: Header=BB54_7 Depth=2
	global_load_b128 v[4:7], v[9:10], off
	v_mul_f64 v[11:12], s[6:7], v[2:3]
	v_mul_f64 v[23:24], s[6:7], v[0:1]
	s_delay_alu instid0(VALU_DEP_2) | instskip(NEXT) | instid1(VALU_DEP_2)
	v_fma_f64 v[0:1], s[4:5], v[0:1], -v[11:12]
	v_fma_f64 v[2:3], s[4:5], v[2:3], v[23:24]
	s_waitcnt vmcnt(0)
	s_delay_alu instid0(VALU_DEP_2) | instskip(NEXT) | instid1(VALU_DEP_2)
	v_add_f64 v[0:1], v[0:1], v[4:5]
	v_add_f64 v[2:3], v[2:3], v[6:7]
	global_store_b128 v[9:10], v[0:3], off
	s_branch .LBB54_6
.LBB54_15:
	s_endpgm
	.section	.rodata,"a",@progbits
	.p2align	6, 0x0
	.amdhsa_kernel _ZL24rocblas_symm_hemm_kernelILb0ELb0ELi32E19rocblas_complex_numIdEPKPKS1_PKPS1_EvbiiT2_T3_lllSA_lllT4_llli
		.amdhsa_group_segment_fixed_size 32768
		.amdhsa_private_segment_fixed_size 0
		.amdhsa_kernarg_size 392
		.amdhsa_user_sgpr_count 13
		.amdhsa_user_sgpr_dispatch_ptr 0
		.amdhsa_user_sgpr_queue_ptr 0
		.amdhsa_user_sgpr_kernarg_segment_ptr 1
		.amdhsa_user_sgpr_dispatch_id 0
		.amdhsa_user_sgpr_private_segment_size 0
		.amdhsa_wavefront_size32 1
		.amdhsa_uses_dynamic_stack 0
		.amdhsa_enable_private_segment 0
		.amdhsa_system_sgpr_workgroup_id_x 1
		.amdhsa_system_sgpr_workgroup_id_y 1
		.amdhsa_system_sgpr_workgroup_id_z 1
		.amdhsa_system_sgpr_workgroup_info 0
		.amdhsa_system_vgpr_workitem_id 1
		.amdhsa_next_free_vgpr 51
		.amdhsa_next_free_sgpr 28
		.amdhsa_reserve_vcc 1
		.amdhsa_float_round_mode_32 0
		.amdhsa_float_round_mode_16_64 0
		.amdhsa_float_denorm_mode_32 3
		.amdhsa_float_denorm_mode_16_64 3
		.amdhsa_dx10_clamp 1
		.amdhsa_ieee_mode 1
		.amdhsa_fp16_overflow 0
		.amdhsa_workgroup_processor_mode 1
		.amdhsa_memory_ordered 1
		.amdhsa_forward_progress 0
		.amdhsa_shared_vgpr_count 0
		.amdhsa_exception_fp_ieee_invalid_op 0
		.amdhsa_exception_fp_denorm_src 0
		.amdhsa_exception_fp_ieee_div_zero 0
		.amdhsa_exception_fp_ieee_overflow 0
		.amdhsa_exception_fp_ieee_underflow 0
		.amdhsa_exception_fp_ieee_inexact 0
		.amdhsa_exception_int_div_zero 0
	.end_amdhsa_kernel
	.section	.text._ZL24rocblas_symm_hemm_kernelILb0ELb0ELi32E19rocblas_complex_numIdEPKPKS1_PKPS1_EvbiiT2_T3_lllSA_lllT4_llli,"axG",@progbits,_ZL24rocblas_symm_hemm_kernelILb0ELb0ELi32E19rocblas_complex_numIdEPKPKS1_PKPS1_EvbiiT2_T3_lllSA_lllT4_llli,comdat
.Lfunc_end54:
	.size	_ZL24rocblas_symm_hemm_kernelILb0ELb0ELi32E19rocblas_complex_numIdEPKPKS1_PKPS1_EvbiiT2_T3_lllSA_lllT4_llli, .Lfunc_end54-_ZL24rocblas_symm_hemm_kernelILb0ELb0ELi32E19rocblas_complex_numIdEPKPKS1_PKPS1_EvbiiT2_T3_lllSA_lllT4_llli
                                        ; -- End function
	.section	.AMDGPU.csdata,"",@progbits
; Kernel info:
; codeLenInByte = 1628
; NumSgprs: 30
; NumVgprs: 51
; ScratchSize: 0
; MemoryBound: 1
; FloatMode: 240
; IeeeMode: 1
; LDSByteSize: 32768 bytes/workgroup (compile time only)
; SGPRBlocks: 3
; VGPRBlocks: 6
; NumSGPRsForWavesPerEU: 30
; NumVGPRsForWavesPerEU: 51
; Occupancy: 16
; WaveLimiterHint : 1
; COMPUTE_PGM_RSRC2:SCRATCH_EN: 0
; COMPUTE_PGM_RSRC2:USER_SGPR: 13
; COMPUTE_PGM_RSRC2:TRAP_HANDLER: 0
; COMPUTE_PGM_RSRC2:TGID_X_EN: 1
; COMPUTE_PGM_RSRC2:TGID_Y_EN: 1
; COMPUTE_PGM_RSRC2:TGID_Z_EN: 1
; COMPUTE_PGM_RSRC2:TIDIG_COMP_CNT: 1
	.section	.text._ZL24rocblas_symm_hemm_kernelILb0ELb1ELi32E19rocblas_complex_numIdEPKPKS1_PKPS1_EvbiiT2_T3_lllSA_lllT4_llli,"axG",@progbits,_ZL24rocblas_symm_hemm_kernelILb0ELb1ELi32E19rocblas_complex_numIdEPKPKS1_PKPS1_EvbiiT2_T3_lllSA_lllT4_llli,comdat
	.globl	_ZL24rocblas_symm_hemm_kernelILb0ELb1ELi32E19rocblas_complex_numIdEPKPKS1_PKPS1_EvbiiT2_T3_lllSA_lllT4_llli ; -- Begin function _ZL24rocblas_symm_hemm_kernelILb0ELb1ELi32E19rocblas_complex_numIdEPKPKS1_PKPS1_EvbiiT2_T3_lllSA_lllT4_llli
	.p2align	8
	.type	_ZL24rocblas_symm_hemm_kernelILb0ELb1ELi32E19rocblas_complex_numIdEPKPKS1_PKPS1_EvbiiT2_T3_lllSA_lllT4_llli,@function
_ZL24rocblas_symm_hemm_kernelILb0ELb1ELi32E19rocblas_complex_numIdEPKPKS1_PKPS1_EvbiiT2_T3_lllSA_lllT4_llli: ; @_ZL24rocblas_symm_hemm_kernelILb0ELb1ELi32E19rocblas_complex_numIdEPKPKS1_PKPS1_EvbiiT2_T3_lllSA_lllT4_llli
; %bb.0:
	s_load_b256 s[4:11], s[0:1], 0x10
	s_waitcnt lgkmcnt(0)
	v_cmp_eq_f64_e64 s3, s[4:5], 0
	v_cmp_eq_f64_e64 s12, s[6:7], 0
	s_delay_alu instid0(VALU_DEP_1) | instskip(NEXT) | instid1(SALU_CYCLE_1)
	s_and_b32 s3, s3, s12
	s_and_b32 vcc_lo, exec_lo, s3
	s_cbranch_vccnz .LBB55_15
; %bb.1:
	s_load_b128 s[16:19], s[0:1], 0x0
	s_mov_b32 s2, s15
	s_waitcnt lgkmcnt(0)
	s_add_i32 s3, s18, -1
	s_delay_alu instid0(SALU_CYCLE_1) | instskip(NEXT) | instid1(SALU_CYCLE_1)
	s_ashr_i32 s12, s3, 31
	s_lshr_b32 s12, s12, 27
	s_delay_alu instid0(SALU_CYCLE_1) | instskip(NEXT) | instid1(SALU_CYCLE_1)
	s_add_i32 s3, s3, s12
	s_ashr_i32 s15, s3, 5
	s_delay_alu instid0(SALU_CYCLE_1)
	s_cmp_gt_i32 s14, s15
	s_cbranch_scc1 .LBB55_15
; %bb.2:
	s_mov_b32 s3, 0
	v_and_b32_e32 v12, 0x3ff, v0
	s_lshl_b64 s[28:29], s[2:3], 3
	v_bfe_u32 v13, v0, 10, 10
	s_add_u32 s2, s8, s28
	s_addc_u32 s3, s9, s29
	s_lshl_b64 s[10:11], s[10:11], 4
	s_load_b64 s[8:9], s[2:3], 0x0
	s_clause 0x1
	s_load_b128 s[20:23], s[0:1], 0x40
	s_load_b128 s[24:27], s[0:1], 0x60
	v_lshl_add_u32 v0, s13, 5, v12
	v_lshlrev_b32_e32 v2, 4, v13
	v_lshlrev_b32_e32 v14, 9, v12
	s_delay_alu instid0(VALU_DEP_3) | instskip(NEXT) | instid1(VALU_DEP_3)
	v_ashrrev_i32_e32 v1, 31, v0
	v_or_b32_e32 v16, 0x4000, v2
	s_delay_alu instid0(VALU_DEP_3) | instskip(NEXT) | instid1(VALU_DEP_2)
	v_add_nc_u32_e32 v15, v14, v2
	v_add_nc_u32_e32 v17, v16, v14
	s_waitcnt lgkmcnt(0)
	s_add_u32 s3, s8, s10
	s_addc_u32 s19, s9, s11
	s_add_u32 s8, s20, s28
	s_addc_u32 s9, s21, s29
	;; [unrolled: 2-line block ×3, first 2 shown]
	s_bitcmp1_b32 s16, 0
	s_load_b64 s[24:25], s[10:11], 0x0
	s_load_b64 s[28:29], s[8:9], 0x0
	s_clause 0x3
	s_load_b64 s[8:9], s[0:1], 0x30
	s_load_b64 s[10:11], s[0:1], 0x50
	;; [unrolled: 1-line block ×3, first 2 shown]
	s_load_b32 s20, s[0:1], 0x8c
	v_cmp_gt_i32_e64 s0, s17, v0
	v_lshlrev_b64 v[0:1], 4, v[0:1]
	s_cselect_b32 s1, -1, 0
	s_lshl_b64 s[16:17], s[26:27], 4
	s_waitcnt lgkmcnt(0)
	s_add_u32 s2, s24, s16
	s_addc_u32 s21, s25, s17
	s_lshl_b64 s[16:17], s[22:23], 4
	v_add_co_u32 v18, vcc_lo, s2, v0
	s_add_u32 s16, s28, s16
	v_add_co_ci_u32_e32 v19, vcc_lo, s21, v1, vcc_lo
	s_addc_u32 s2, s29, s17
	v_add_co_u32 v20, vcc_lo, s16, v0
	v_add_co_ci_u32_e32 v21, vcc_lo, s2, v1, vcc_lo
	s_cmp_gt_i32 s18, 0
	s_cselect_b32 s16, -1, 0
	s_branch .LBB55_4
.LBB55_3:                               ;   in Loop: Header=BB55_4 Depth=1
	s_add_i32 s14, s14, s20
	s_delay_alu instid0(SALU_CYCLE_1)
	s_cmp_gt_i32 s14, s15
	s_cbranch_scc1 .LBB55_15
.LBB55_4:                               ; =>This Loop Header: Depth=1
                                        ;     Child Loop BB55_7 Depth 2
                                        ;       Child Loop BB55_13 Depth 3
	s_and_not1_b32 vcc_lo, exec_lo, s16
	s_cbranch_vccnz .LBB55_3
; %bb.5:                                ;   in Loop: Header=BB55_4 Depth=1
	v_lshl_add_u32 v22, s14, 5, v13
	s_mov_b32 s17, 0
	s_delay_alu instid0(VALU_DEP_1) | instskip(SKIP_3) | instid1(VALU_DEP_4)
	v_ashrrev_i32_e32 v2, 31, v22
	v_mul_lo_u32 v3, v22, s13
	v_mad_u64_u32 v[0:1], null, v22, s12, 0
	v_cmp_gt_i32_e32 vcc_lo, s18, v22
	v_mul_lo_u32 v2, v2, s12
	s_delay_alu instid0(VALU_DEP_1) | instskip(NEXT) | instid1(VALU_DEP_1)
	v_add3_u32 v1, v1, v3, v2
	v_lshlrev_b64 v[0:1], 4, v[0:1]
	s_delay_alu instid0(VALU_DEP_1) | instskip(NEXT) | instid1(VALU_DEP_1)
	v_add_co_u32 v8, s2, v18, v0
	v_add_co_ci_u32_e64 v9, s2, v19, v1, s2
	s_and_b32 s2, s0, vcc_lo
	s_branch .LBB55_7
.LBB55_6:                               ;   in Loop: Header=BB55_7 Depth=2
	s_or_b32 exec_lo, exec_lo, s21
	s_add_i32 s17, s17, 32
	s_waitcnt_vscnt null, 0x0
	s_cmp_ge_i32 s17, s18
	s_barrier
	buffer_gl0_inv
	s_cbranch_scc1 .LBB55_3
.LBB55_7:                               ;   Parent Loop BB55_4 Depth=1
                                        ; =>  This Loop Header: Depth=2
                                        ;       Child Loop BB55_13 Depth 3
	v_add_nc_u32_e32 v2, s17, v13
	v_mov_b32_e32 v0, 0
	v_mov_b32_e32 v1, 0
	s_delay_alu instid0(VALU_DEP_3) | instskip(NEXT) | instid1(VALU_DEP_2)
	v_cmp_gt_i32_e32 vcc_lo, s18, v2
	v_dual_mov_b32 v5, v1 :: v_dual_mov_b32 v4, v0
	v_dual_mov_b32 v7, v1 :: v_dual_mov_b32 v6, v0
	s_and_b32 s22, s0, vcc_lo
	s_delay_alu instid0(SALU_CYCLE_1)
	s_and_saveexec_b32 s21, s22
	s_cbranch_execz .LBB55_9
; %bb.8:                                ;   in Loop: Header=BB55_7 Depth=2
	v_ashrrev_i32_e32 v5, 31, v2
	v_mul_lo_u32 v6, v2, s11
	v_mad_u64_u32 v[3:4], null, v2, s10, 0
	s_delay_alu instid0(VALU_DEP_3) | instskip(NEXT) | instid1(VALU_DEP_1)
	v_mul_lo_u32 v2, v5, s10
	v_add3_u32 v4, v4, v6, v2
	s_delay_alu instid0(VALU_DEP_1) | instskip(NEXT) | instid1(VALU_DEP_1)
	v_lshlrev_b64 v[2:3], 4, v[3:4]
	v_add_co_u32 v2, vcc_lo, v20, v2
	s_delay_alu instid0(VALU_DEP_2)
	v_add_co_ci_u32_e32 v3, vcc_lo, v21, v3, vcc_lo
	global_load_b128 v[4:7], v[2:3], off
.LBB55_9:                               ;   in Loop: Header=BB55_7 Depth=2
	s_or_b32 exec_lo, exec_lo, s21
	v_add_nc_u32_e32 v2, s17, v12
	s_waitcnt vmcnt(0)
	ds_store_b128 v15, v[4:7]
	v_cndmask_b32_e64 v3, v22, v2, s1
	v_cndmask_b32_e64 v10, v2, v22, s1
	s_delay_alu instid0(VALU_DEP_1) | instskip(SKIP_2) | instid1(VALU_DEP_1)
	v_cmp_gt_i32_e32 vcc_lo, v3, v10
	v_cndmask_b32_e32 v10, v2, v22, vcc_lo
	v_cndmask_b32_e32 v11, v22, v2, vcc_lo
	v_max_i32_e32 v2, v10, v11
	s_delay_alu instid0(VALU_DEP_1)
	v_cmp_gt_i32_e32 vcc_lo, s18, v2
	v_dual_mov_b32 v3, v1 :: v_dual_mov_b32 v2, v0
	s_and_saveexec_b32 s21, vcc_lo
	s_cbranch_execz .LBB55_11
; %bb.10:                               ;   in Loop: Header=BB55_7 Depth=2
	v_ashrrev_i32_e32 v2, 31, v11
	v_mul_lo_u32 v3, v11, s9
	v_mad_u64_u32 v[0:1], null, v11, s8, 0
	v_ashrrev_i32_e32 v11, 31, v10
	s_delay_alu instid0(VALU_DEP_4) | instskip(NEXT) | instid1(VALU_DEP_1)
	v_mul_lo_u32 v2, v2, s8
	v_add3_u32 v1, v1, v3, v2
	s_delay_alu instid0(VALU_DEP_3) | instskip(NEXT) | instid1(VALU_DEP_2)
	v_lshlrev_b64 v[2:3], 4, v[10:11]
	v_lshlrev_b64 v[0:1], 4, v[0:1]
	s_delay_alu instid0(VALU_DEP_1) | instskip(NEXT) | instid1(VALU_DEP_2)
	v_add_co_u32 v0, vcc_lo, s3, v0
	v_add_co_ci_u32_e32 v1, vcc_lo, s19, v1, vcc_lo
	s_delay_alu instid0(VALU_DEP_2) | instskip(NEXT) | instid1(VALU_DEP_2)
	v_add_co_u32 v0, vcc_lo, v0, v2
	v_add_co_ci_u32_e32 v1, vcc_lo, v1, v3, vcc_lo
	global_load_b128 v[0:3], v[0:1], off
.LBB55_11:                              ;   in Loop: Header=BB55_7 Depth=2
	s_or_b32 exec_lo, exec_lo, s21
	s_waitcnt vmcnt(0)
	ds_store_b128 v17, v[0:3]
	s_waitcnt lgkmcnt(0)
	s_barrier
	buffer_gl0_inv
	s_and_saveexec_b32 s21, s2
	s_cbranch_execz .LBB55_6
; %bb.12:                               ;   in Loop: Header=BB55_7 Depth=2
	v_mov_b32_e32 v0, 0
	v_dual_mov_b32 v1, 0 :: v_dual_mov_b32 v4, v16
	s_mov_b32 s22, 0
	s_delay_alu instid0(VALU_DEP_1)
	v_dual_mov_b32 v3, v1 :: v_dual_mov_b32 v2, v0
.LBB55_13:                              ;   Parent Loop BB55_4 Depth=1
                                        ;     Parent Loop BB55_7 Depth=2
                                        ; =>    This Inner Loop Header: Depth=3
	v_add_nc_u32_e32 v7, s22, v14
	s_addk_i32 s22, 0x80
	ds_load_b128 v[23:26], v4
	ds_load_b128 v[27:30], v7
	ds_load_b128 v[31:34], v4 offset:512
	ds_load_b128 v[35:38], v7 offset:16
	s_cmpk_eq_i32 s22, 0x200
	s_waitcnt lgkmcnt(2)
	v_mul_f64 v[5:6], v[25:26], v[29:30]
	v_mul_f64 v[10:11], v[23:24], v[29:30]
	s_waitcnt lgkmcnt(0)
	v_mul_f64 v[45:46], v[33:34], v[37:38]
	v_mul_f64 v[47:48], v[31:32], v[37:38]
	s_delay_alu instid0(VALU_DEP_4) | instskip(NEXT) | instid1(VALU_DEP_4)
	v_fma_f64 v[5:6], v[23:24], v[27:28], -v[5:6]
	v_fma_f64 v[10:11], v[25:26], v[27:28], v[10:11]
	ds_load_b128 v[23:26], v4 offset:1024
	ds_load_b128 v[27:30], v7 offset:32
	;; [unrolled: 1-line block ×4, first 2 shown]
	v_fma_f64 v[31:32], v[31:32], v[35:36], -v[45:46]
	v_fma_f64 v[33:34], v[33:34], v[35:36], v[47:48]
	s_waitcnt lgkmcnt(2)
	v_mul_f64 v[49:50], v[25:26], v[29:30]
	v_mul_f64 v[29:30], v[23:24], v[29:30]
	v_add_f64 v[0:1], v[0:1], v[5:6]
	v_add_f64 v[2:3], v[2:3], v[10:11]
	s_waitcnt lgkmcnt(0)
	v_mul_f64 v[5:6], v[39:40], v[43:44]
	v_mul_f64 v[10:11], v[37:38], v[43:44]
	v_fma_f64 v[35:36], v[23:24], v[27:28], -v[49:50]
	v_fma_f64 v[43:44], v[25:26], v[27:28], v[29:30]
	v_add_f64 v[45:46], v[0:1], v[31:32]
	v_add_f64 v[47:48], v[2:3], v[33:34]
	ds_load_b128 v[0:3], v4 offset:2048
	ds_load_b128 v[23:26], v7 offset:64
	;; [unrolled: 1-line block ×4, first 2 shown]
	v_fma_f64 v[5:6], v[37:38], v[41:42], -v[5:6]
	v_fma_f64 v[10:11], v[39:40], v[41:42], v[10:11]
	s_waitcnt lgkmcnt(2)
	v_mul_f64 v[49:50], v[2:3], v[25:26]
	v_mul_f64 v[25:26], v[0:1], v[25:26]
	s_waitcnt lgkmcnt(0)
	v_mul_f64 v[41:42], v[29:30], v[33:34]
	v_add_f64 v[35:36], v[45:46], v[35:36]
	v_add_f64 v[37:38], v[47:48], v[43:44]
	v_mul_f64 v[43:44], v[27:28], v[33:34]
	v_fma_f64 v[45:46], v[0:1], v[23:24], -v[49:50]
	v_fma_f64 v[47:48], v[2:3], v[23:24], v[25:26]
	v_fma_f64 v[27:28], v[27:28], v[31:32], -v[41:42]
	v_add_f64 v[5:6], v[35:36], v[5:6]
	v_add_f64 v[10:11], v[37:38], v[10:11]
	ds_load_b128 v[0:3], v4 offset:3072
	ds_load_b128 v[23:26], v7 offset:96
	;; [unrolled: 1-line block ×4, first 2 shown]
	v_fma_f64 v[29:30], v[29:30], v[31:32], v[43:44]
	v_add_nc_u32_e32 v4, 0x1000, v4
	s_waitcnt lgkmcnt(2)
	v_mul_f64 v[49:50], v[2:3], v[25:26]
	v_mul_f64 v[25:26], v[0:1], v[25:26]
	s_waitcnt lgkmcnt(0)
	v_mul_f64 v[31:32], v[35:36], v[39:40]
	v_mul_f64 v[39:40], v[33:34], v[39:40]
	v_add_f64 v[5:6], v[5:6], v[45:46]
	v_add_f64 v[10:11], v[10:11], v[47:48]
	v_fma_f64 v[0:1], v[0:1], v[23:24], -v[49:50]
	v_fma_f64 v[2:3], v[2:3], v[23:24], v[25:26]
	v_fma_f64 v[23:24], v[33:34], v[37:38], -v[31:32]
	v_fma_f64 v[25:26], v[35:36], v[37:38], v[39:40]
	v_add_f64 v[5:6], v[5:6], v[27:28]
	v_add_f64 v[10:11], v[10:11], v[29:30]
	s_delay_alu instid0(VALU_DEP_2) | instskip(NEXT) | instid1(VALU_DEP_2)
	v_add_f64 v[0:1], v[5:6], v[0:1]
	v_add_f64 v[2:3], v[10:11], v[2:3]
	s_delay_alu instid0(VALU_DEP_2) | instskip(NEXT) | instid1(VALU_DEP_2)
	v_add_f64 v[0:1], v[0:1], v[23:24]
	v_add_f64 v[2:3], v[2:3], v[25:26]
	s_cbranch_scc0 .LBB55_13
; %bb.14:                               ;   in Loop: Header=BB55_7 Depth=2
	global_load_b128 v[4:7], v[8:9], off
	v_mul_f64 v[10:11], s[6:7], v[2:3]
	v_mul_f64 v[23:24], s[6:7], v[0:1]
	s_delay_alu instid0(VALU_DEP_2) | instskip(NEXT) | instid1(VALU_DEP_2)
	v_fma_f64 v[0:1], s[4:5], v[0:1], -v[10:11]
	v_fma_f64 v[2:3], s[4:5], v[2:3], v[23:24]
	s_waitcnt vmcnt(0)
	s_delay_alu instid0(VALU_DEP_2) | instskip(NEXT) | instid1(VALU_DEP_2)
	v_add_f64 v[0:1], v[0:1], v[4:5]
	v_add_f64 v[2:3], v[2:3], v[6:7]
	global_store_b128 v[8:9], v[0:3], off
	s_branch .LBB55_6
.LBB55_15:
	s_endpgm
	.section	.rodata,"a",@progbits
	.p2align	6, 0x0
	.amdhsa_kernel _ZL24rocblas_symm_hemm_kernelILb0ELb1ELi32E19rocblas_complex_numIdEPKPKS1_PKPS1_EvbiiT2_T3_lllSA_lllT4_llli
		.amdhsa_group_segment_fixed_size 32768
		.amdhsa_private_segment_fixed_size 0
		.amdhsa_kernarg_size 392
		.amdhsa_user_sgpr_count 13
		.amdhsa_user_sgpr_dispatch_ptr 0
		.amdhsa_user_sgpr_queue_ptr 0
		.amdhsa_user_sgpr_kernarg_segment_ptr 1
		.amdhsa_user_sgpr_dispatch_id 0
		.amdhsa_user_sgpr_private_segment_size 0
		.amdhsa_wavefront_size32 1
		.amdhsa_uses_dynamic_stack 0
		.amdhsa_enable_private_segment 0
		.amdhsa_system_sgpr_workgroup_id_x 1
		.amdhsa_system_sgpr_workgroup_id_y 1
		.amdhsa_system_sgpr_workgroup_id_z 1
		.amdhsa_system_sgpr_workgroup_info 0
		.amdhsa_system_vgpr_workitem_id 1
		.amdhsa_next_free_vgpr 51
		.amdhsa_next_free_sgpr 30
		.amdhsa_reserve_vcc 1
		.amdhsa_float_round_mode_32 0
		.amdhsa_float_round_mode_16_64 0
		.amdhsa_float_denorm_mode_32 3
		.amdhsa_float_denorm_mode_16_64 3
		.amdhsa_dx10_clamp 1
		.amdhsa_ieee_mode 1
		.amdhsa_fp16_overflow 0
		.amdhsa_workgroup_processor_mode 1
		.amdhsa_memory_ordered 1
		.amdhsa_forward_progress 0
		.amdhsa_shared_vgpr_count 0
		.amdhsa_exception_fp_ieee_invalid_op 0
		.amdhsa_exception_fp_denorm_src 0
		.amdhsa_exception_fp_ieee_div_zero 0
		.amdhsa_exception_fp_ieee_overflow 0
		.amdhsa_exception_fp_ieee_underflow 0
		.amdhsa_exception_fp_ieee_inexact 0
		.amdhsa_exception_int_div_zero 0
	.end_amdhsa_kernel
	.section	.text._ZL24rocblas_symm_hemm_kernelILb0ELb1ELi32E19rocblas_complex_numIdEPKPKS1_PKPS1_EvbiiT2_T3_lllSA_lllT4_llli,"axG",@progbits,_ZL24rocblas_symm_hemm_kernelILb0ELb1ELi32E19rocblas_complex_numIdEPKPKS1_PKPS1_EvbiiT2_T3_lllSA_lllT4_llli,comdat
.Lfunc_end55:
	.size	_ZL24rocblas_symm_hemm_kernelILb0ELb1ELi32E19rocblas_complex_numIdEPKPKS1_PKPS1_EvbiiT2_T3_lllSA_lllT4_llli, .Lfunc_end55-_ZL24rocblas_symm_hemm_kernelILb0ELb1ELi32E19rocblas_complex_numIdEPKPKS1_PKPS1_EvbiiT2_T3_lllSA_lllT4_llli
                                        ; -- End function
	.section	.AMDGPU.csdata,"",@progbits
; Kernel info:
; codeLenInByte = 1572
; NumSgprs: 32
; NumVgprs: 51
; ScratchSize: 0
; MemoryBound: 1
; FloatMode: 240
; IeeeMode: 1
; LDSByteSize: 32768 bytes/workgroup (compile time only)
; SGPRBlocks: 3
; VGPRBlocks: 6
; NumSGPRsForWavesPerEU: 32
; NumVGPRsForWavesPerEU: 51
; Occupancy: 16
; WaveLimiterHint : 1
; COMPUTE_PGM_RSRC2:SCRATCH_EN: 0
; COMPUTE_PGM_RSRC2:USER_SGPR: 13
; COMPUTE_PGM_RSRC2:TRAP_HANDLER: 0
; COMPUTE_PGM_RSRC2:TGID_X_EN: 1
; COMPUTE_PGM_RSRC2:TGID_Y_EN: 1
; COMPUTE_PGM_RSRC2:TGID_Z_EN: 1
; COMPUTE_PGM_RSRC2:TIDIG_COMP_CNT: 1
	.section	.text._ZL24rocblas_symm_hemm_kernelILb1ELb0ELi32EPK19rocblas_complex_numIfEPKS3_PKPS1_EvbiiT2_T3_lllSA_lllT4_llli,"axG",@progbits,_ZL24rocblas_symm_hemm_kernelILb1ELb0ELi32EPK19rocblas_complex_numIfEPKS3_PKPS1_EvbiiT2_T3_lllSA_lllT4_llli,comdat
	.globl	_ZL24rocblas_symm_hemm_kernelILb1ELb0ELi32EPK19rocblas_complex_numIfEPKS3_PKPS1_EvbiiT2_T3_lllSA_lllT4_llli ; -- Begin function _ZL24rocblas_symm_hemm_kernelILb1ELb0ELi32EPK19rocblas_complex_numIfEPKS3_PKPS1_EvbiiT2_T3_lllSA_lllT4_llli
	.p2align	8
	.type	_ZL24rocblas_symm_hemm_kernelILb1ELb0ELi32EPK19rocblas_complex_numIfEPKS3_PKPS1_EvbiiT2_T3_lllSA_lllT4_llli,@function
_ZL24rocblas_symm_hemm_kernelILb1ELb0ELi32EPK19rocblas_complex_numIfEPKS3_PKPS1_EvbiiT2_T3_lllSA_lllT4_llli: ; @_ZL24rocblas_symm_hemm_kernelILb1ELb0ELi32EPK19rocblas_complex_numIfEPKS3_PKPS1_EvbiiT2_T3_lllSA_lllT4_llli
; %bb.0:
	s_load_b256 s[4:11], s[0:1], 0x10
	s_waitcnt lgkmcnt(0)
	s_load_b64 s[24:25], s[4:5], 0x0
	s_waitcnt lgkmcnt(0)
	v_cmp_eq_f32_e64 s3, s24, 0
	v_cmp_eq_f32_e64 s4, s25, 0
	s_delay_alu instid0(VALU_DEP_1) | instskip(NEXT) | instid1(SALU_CYCLE_1)
	s_and_b32 s3, s3, s4
	s_and_b32 vcc_lo, exec_lo, s3
	s_cbranch_vccnz .LBB56_23
; %bb.1:
	s_load_b128 s[16:19], s[0:1], 0x0
	s_waitcnt lgkmcnt(0)
	s_add_i32 s3, s18, -1
	s_delay_alu instid0(SALU_CYCLE_1) | instskip(NEXT) | instid1(SALU_CYCLE_1)
	s_ashr_i32 s4, s3, 31
	s_lshr_b32 s4, s4, 27
	s_delay_alu instid0(SALU_CYCLE_1) | instskip(NEXT) | instid1(SALU_CYCLE_1)
	s_add_i32 s3, s3, s4
	s_ashr_i32 s12, s3, 5
	s_delay_alu instid0(SALU_CYCLE_1)
	s_cmp_gt_i32 s14, s12
	s_cbranch_scc1 .LBB56_23
; %bb.2:
	s_clause 0x1
	s_load_b128 s[20:23], s[0:1], 0x38
	s_load_b64 s[26:27], s[0:1], 0x48
	s_mov_b32 s2, s15
	s_mov_b32 s3, 0
	v_and_b32_e32 v11, 0x3ff, v0
	s_lshl_b64 s[2:3], s[2:3], 3
	v_bfe_u32 v12, v0, 10, 10
	s_add_u32 s28, s6, s2
	s_addc_u32 s29, s7, s3
	v_lshl_add_u32 v0, s13, 5, v11
	v_lshlrev_b32_e32 v13, 8, v11
	v_lshlrev_b32_e32 v4, 3, v12
	s_delay_alu instid0(VALU_DEP_3) | instskip(SKIP_2) | instid1(VALU_DEP_4)
	v_ashrrev_i32_e32 v1, 31, v0
	v_mul_lo_u32 v6, v0, s11
	v_mad_u64_u32 v[2:3], null, v0, s10, 0
	v_add_nc_u32_e32 v14, v13, v4
	s_delay_alu instid0(VALU_DEP_4)
	v_mul_lo_u32 v7, v1, s10
	s_waitcnt lgkmcnt(0)
	s_add_u32 s4, s20, s2
	s_addc_u32 s5, s21, s3
	s_lshl_b64 s[22:23], s[22:23], 3
	s_load_b64 s[30:31], s[4:5], 0x0
	s_load_b128 s[4:7], s[0:1], 0x58
	v_or_b32_e32 v15, 0x2000, v4
	v_lshlrev_b64 v[4:5], 3, v[0:1]
	s_load_b64 s[20:21], s[0:1], 0x68
	v_add3_u32 v3, v3, v6, v7
	s_delay_alu instid0(VALU_DEP_3) | instskip(NEXT) | instid1(VALU_DEP_2)
	v_add_nc_u32_e32 v16, v15, v13
	v_lshlrev_b64 v[1:2], 3, v[2:3]
	s_waitcnt lgkmcnt(0)
	s_add_u32 s13, s30, s22
	s_addc_u32 s15, s31, s23
	s_add_u32 s2, s4, s2
	s_load_b32 s4, s[0:1], 0x84
	s_addc_u32 s3, s5, s3
	s_load_b64 s[22:23], s[28:29], 0x0
	s_load_b64 s[2:3], s[2:3], 0x0
	s_bitcmp1_b32 s16, 0
	v_cmp_gt_i32_e64 s0, s17, v0
	s_cselect_b32 s1, -1, 0
	s_lshl_b64 s[6:7], s[6:7], 3
	s_waitcnt lgkmcnt(0)
	s_add_u32 s5, s2, s6
	s_addc_u32 s6, s3, s7
	s_lshl_b64 s[2:3], s[8:9], 3
	v_add_co_u32 v17, vcc_lo, s5, v4
	s_add_u32 s2, s22, s2
	v_add_co_ci_u32_e32 v18, vcc_lo, s6, v5, vcc_lo
	s_addc_u32 s3, s23, s3
	v_add_co_u32 v19, vcc_lo, s2, v4
	v_add_co_ci_u32_e32 v20, vcc_lo, s3, v5, vcc_lo
	v_add_co_u32 v21, vcc_lo, s2, v1
	v_add_co_ci_u32_e32 v22, vcc_lo, s3, v2, vcc_lo
	s_delay_alu instid0(VALU_DEP_4) | instskip(NEXT) | instid1(VALU_DEP_4)
	v_add_co_u32 v1, vcc_lo, v19, v1
	v_add_co_ci_u32_e32 v2, vcc_lo, v20, v2, vcc_lo
	s_cmp_gt_i32 s17, 0
	s_cselect_b32 s5, -1, 0
	s_branch .LBB56_4
.LBB56_3:                               ;   in Loop: Header=BB56_4 Depth=1
	s_add_i32 s14, s14, s4
	s_delay_alu instid0(SALU_CYCLE_1)
	s_cmp_gt_i32 s14, s12
	s_cbranch_scc1 .LBB56_23
.LBB56_4:                               ; =>This Loop Header: Depth=1
                                        ;     Child Loop BB56_7 Depth 2
                                        ;       Child Loop BB56_21 Depth 3
	s_and_not1_b32 vcc_lo, exec_lo, s5
	s_cbranch_vccnz .LBB56_3
; %bb.5:                                ;   in Loop: Header=BB56_4 Depth=1
	v_lshl_add_u32 v7, s14, 5, v12
	s_mov_b32 s7, 0
	s_delay_alu instid0(VALU_DEP_1) | instskip(SKIP_3) | instid1(VALU_DEP_4)
	v_ashrrev_i32_e32 v8, 31, v7
	v_mul_lo_u32 v9, v7, s27
	v_mad_u64_u32 v[3:4], null, v7, s26, 0
	v_mul_lo_u32 v23, v7, s21
	v_mul_lo_u32 v10, v8, s26
	v_mad_u64_u32 v[5:6], null, v7, s20, 0
	v_mul_lo_u32 v8, v8, s20
	v_cmp_gt_i32_e32 vcc_lo, s18, v7
	s_delay_alu instid0(VALU_DEP_4) | instskip(SKIP_1) | instid1(VALU_DEP_3)
	v_add3_u32 v4, v4, v9, v10
	s_and_b32 s6, s0, vcc_lo
	v_add3_u32 v6, v6, v23, v8
	s_delay_alu instid0(VALU_DEP_2) | instskip(NEXT) | instid1(VALU_DEP_2)
	v_lshlrev_b64 v[3:4], 3, v[3:4]
	v_lshlrev_b64 v[5:6], 3, v[5:6]
	s_delay_alu instid0(VALU_DEP_2) | instskip(NEXT) | instid1(VALU_DEP_1)
	v_add_co_u32 v23, s2, s13, v3
	v_add_co_ci_u32_e64 v24, s2, s15, v4, s2
	s_delay_alu instid0(VALU_DEP_3) | instskip(NEXT) | instid1(VALU_DEP_1)
	v_add_co_u32 v3, s2, v17, v5
	v_add_co_ci_u32_e64 v4, s2, v18, v6, s2
	s_branch .LBB56_7
.LBB56_6:                               ;   in Loop: Header=BB56_7 Depth=2
	s_or_b32 exec_lo, exec_lo, s2
	s_add_i32 s7, s7, 32
	s_waitcnt_vscnt null, 0x0
	s_cmp_ge_i32 s7, s17
	s_barrier
	buffer_gl0_inv
	s_cbranch_scc1 .LBB56_3
.LBB56_7:                               ;   Parent Loop BB56_4 Depth=1
                                        ; =>  This Loop Header: Depth=2
                                        ;       Child Loop BB56_21 Depth 3
	v_add_nc_u32_e32 v6, s7, v12
	s_mov_b32 s8, exec_lo
	s_delay_alu instid0(VALU_DEP_1) | instskip(SKIP_1) | instid1(VALU_DEP_1)
	v_cndmask_b32_e64 v8, v6, v0, s1
	v_cndmask_b32_e64 v9, v0, v6, s1
	v_cmp_gt_i32_e64 s2, v8, v9
	s_delay_alu instid0(VALU_DEP_1) | instskip(SKIP_3) | instid1(VALU_DEP_3)
	v_cndmask_b32_e64 v5, v0, v6, s2
	v_cndmask_b32_e64 v7, v6, v0, s2
	v_cmp_le_i32_e64 s2, v8, v9
	v_mov_b32_e32 v8, 0
	v_max_i32_e32 v10, v5, v7
	v_mov_b32_e32 v5, 0
	v_mov_b32_e32 v7, 0
	s_delay_alu instid0(VALU_DEP_3)
	v_cmpx_gt_i32_e64 s17, v10
	s_cbranch_execz .LBB56_17
; %bb.8:                                ;   in Loop: Header=BB56_7 Depth=2
                                        ; implicit-def: $vgpr8
	s_and_saveexec_b32 s3, s2
	s_delay_alu instid0(SALU_CYCLE_1)
	s_xor_b32 s3, exec_lo, s3
	s_cbranch_execz .LBB56_14
; %bb.9:                                ;   in Loop: Header=BB56_7 Depth=2
	s_mov_b32 s9, exec_lo
                                        ; implicit-def: $vgpr8
	v_cmpx_ne_u32_e64 v0, v6
	s_xor_b32 s9, exec_lo, s9
	s_cbranch_execz .LBB56_11
; %bb.10:                               ;   in Loop: Header=BB56_7 Depth=2
	v_ashrrev_i32_e32 v9, 31, v6
	v_mul_lo_u32 v10, v6, s11
	v_mad_u64_u32 v[7:8], null, v6, s10, 0
	s_delay_alu instid0(VALU_DEP_3) | instskip(NEXT) | instid1(VALU_DEP_1)
	v_mul_lo_u32 v6, v9, s10
	v_add3_u32 v8, v8, v10, v6
	s_delay_alu instid0(VALU_DEP_1) | instskip(NEXT) | instid1(VALU_DEP_1)
	v_lshlrev_b64 v[6:7], 3, v[7:8]
	v_add_co_u32 v6, s2, v19, v6
	s_delay_alu instid0(VALU_DEP_1)
	v_add_co_ci_u32_e64 v7, s2, v20, v7, s2
	global_load_b64 v[7:8], v[6:7], off
.LBB56_11:                              ;   in Loop: Header=BB56_7 Depth=2
	s_and_not1_saveexec_b32 s2, s9
	s_cbranch_execz .LBB56_13
; %bb.12:                               ;   in Loop: Header=BB56_7 Depth=2
	global_load_b32 v7, v[1:2], off
	s_waitcnt vmcnt(1)
	v_mov_b32_e32 v8, 0
.LBB56_13:                              ;   in Loop: Header=BB56_7 Depth=2
	s_or_b32 exec_lo, exec_lo, s2
                                        ; implicit-def: $vgpr6
.LBB56_14:                              ;   in Loop: Header=BB56_7 Depth=2
	s_and_not1_saveexec_b32 s3, s3
	s_cbranch_execz .LBB56_16
; %bb.15:                               ;   in Loop: Header=BB56_7 Depth=2
	s_waitcnt vmcnt(0)
	v_ashrrev_i32_e32 v7, 31, v6
	s_delay_alu instid0(VALU_DEP_1) | instskip(NEXT) | instid1(VALU_DEP_1)
	v_lshlrev_b64 v[6:7], 3, v[6:7]
	v_add_co_u32 v6, s2, v21, v6
	s_delay_alu instid0(VALU_DEP_1)
	v_add_co_ci_u32_e64 v7, s2, v22, v7, s2
	global_load_b64 v[7:8], v[6:7], off
	s_waitcnt vmcnt(0)
	v_xor_b32_e32 v8, 0x80000000, v8
.LBB56_16:                              ;   in Loop: Header=BB56_7 Depth=2
	s_or_b32 exec_lo, exec_lo, s3
.LBB56_17:                              ;   in Loop: Header=BB56_7 Depth=2
	s_delay_alu instid0(SALU_CYCLE_1) | instskip(SKIP_4) | instid1(VALU_DEP_1)
	s_or_b32 exec_lo, exec_lo, s8
	v_dual_mov_b32 v6, 0 :: v_dual_add_nc_u32 v9, s7, v11
	s_waitcnt vmcnt(0)
	ds_store_b64 v14, v[7:8]
	v_cmp_gt_i32_e64 s2, s17, v9
	s_and_b32 s2, s2, vcc_lo
	s_delay_alu instid0(SALU_CYCLE_1)
	s_and_saveexec_b32 s3, s2
	s_cbranch_execz .LBB56_19
; %bb.18:                               ;   in Loop: Header=BB56_7 Depth=2
	v_ashrrev_i32_e32 v10, 31, v9
	s_delay_alu instid0(VALU_DEP_1) | instskip(NEXT) | instid1(VALU_DEP_1)
	v_lshlrev_b64 v[5:6], 3, v[9:10]
	v_add_co_u32 v5, s2, v23, v5
	s_delay_alu instid0(VALU_DEP_1)
	v_add_co_ci_u32_e64 v6, s2, v24, v6, s2
	global_load_b64 v[5:6], v[5:6], off
.LBB56_19:                              ;   in Loop: Header=BB56_7 Depth=2
	s_or_b32 exec_lo, exec_lo, s3
	s_waitcnt vmcnt(0)
	ds_store_b64 v16, v[5:6]
	s_waitcnt lgkmcnt(0)
	s_barrier
	buffer_gl0_inv
	s_and_saveexec_b32 s2, s6
	s_cbranch_execz .LBB56_6
; %bb.20:                               ;   in Loop: Header=BB56_7 Depth=2
	v_dual_mov_b32 v6, 0 :: v_dual_mov_b32 v5, v15
	v_mov_b32_e32 v7, 0
	s_mov_b32 s3, 0
.LBB56_21:                              ;   Parent Loop BB56_4 Depth=1
                                        ;     Parent Loop BB56_7 Depth=2
                                        ; =>    This Inner Loop Header: Depth=3
	s_delay_alu instid0(SALU_CYCLE_1)
	v_add_nc_u32_e32 v8, s3, v13
	ds_load_2addr_b64 v[25:28], v5 offset1:32
	ds_load_2addr_b64 v[29:32], v5 offset0:64 offset1:96
	ds_load_2addr_b64 v[33:36], v5 offset0:128 offset1:160
	ds_load_2addr_b64 v[37:40], v5 offset0:192 offset1:224
	ds_load_b128 v[41:44], v8
	ds_load_b128 v[45:48], v8 offset:16
	ds_load_b128 v[49:52], v8 offset:32
	;; [unrolled: 1-line block ×3, first 2 shown]
	s_add_i32 s3, s3, 64
	v_add_nc_u32_e32 v5, 0x800, v5
	s_cmpk_eq_i32 s3, 0x100
	s_waitcnt lgkmcnt(3)
	v_mul_f32_e32 v9, v25, v42
	s_waitcnt lgkmcnt(2)
	v_dual_mul_f32 v8, v26, v42 :: v_dual_mul_f32 v57, v32, v48
	v_mul_f32_e32 v10, v28, v44
	s_delay_alu instid0(VALU_DEP_3) | instskip(NEXT) | instid1(VALU_DEP_3)
	v_dual_mul_f32 v42, v27, v44 :: v_dual_fmac_f32 v9, v26, v41
	v_fma_f32 v8, v25, v41, -v8
	s_waitcnt lgkmcnt(1)
	v_dual_mul_f32 v44, v30, v46 :: v_dual_mul_f32 v25, v36, v52
	s_delay_alu instid0(VALU_DEP_3) | instskip(SKIP_2) | instid1(VALU_DEP_4)
	v_dual_mul_f32 v46, v29, v46 :: v_dual_add_f32 v7, v7, v9
	v_fma_f32 v10, v27, v43, -v10
	v_add_f32_e32 v6, v6, v8
	v_fma_f32 v9, v29, v45, -v44
	s_delay_alu instid0(VALU_DEP_4) | instskip(SKIP_4) | instid1(VALU_DEP_1)
	v_fmac_f32_e32 v46, v30, v45
	v_fma_f32 v26, v31, v47, -v57
	v_fma_f32 v25, v35, v51, -v25
	v_add_f32_e32 v6, v6, v10
	s_waitcnt lgkmcnt(0)
	v_dual_add_f32 v6, v6, v9 :: v_dual_mul_f32 v9, v37, v54
	v_fmac_f32_e32 v42, v28, v43
	v_mul_f32_e32 v48, v31, v48
	s_delay_alu instid0(VALU_DEP_3) | instskip(NEXT) | instid1(VALU_DEP_4)
	v_add_f32_e32 v6, v6, v26
	v_fmac_f32_e32 v9, v38, v53
	s_delay_alu instid0(VALU_DEP_3) | instskip(NEXT) | instid1(VALU_DEP_1)
	v_dual_add_f32 v7, v7, v42 :: v_dual_fmac_f32 v48, v32, v47
	v_dual_mul_f32 v26, v40, v56 :: v_dual_add_f32 v7, v7, v46
	v_mul_f32_e32 v58, v34, v50
	s_delay_alu instid0(VALU_DEP_2) | instskip(NEXT) | instid1(VALU_DEP_2)
	v_dual_mul_f32 v50, v33, v50 :: v_dual_add_f32 v7, v7, v48
	v_fma_f32 v27, v33, v49, -v58
	s_delay_alu instid0(VALU_DEP_1) | instskip(SKIP_1) | instid1(VALU_DEP_4)
	v_dual_add_f32 v6, v6, v27 :: v_dual_mul_f32 v27, v39, v56
	v_mul_f32_e32 v8, v35, v52
	v_fmac_f32_e32 v50, v34, v49
	s_delay_alu instid0(VALU_DEP_3) | instskip(NEXT) | instid1(VALU_DEP_2)
	v_dual_add_f32 v6, v6, v25 :: v_dual_fmac_f32 v27, v40, v55
	v_dual_fmac_f32 v8, v36, v51 :: v_dual_add_f32 v7, v7, v50
	s_delay_alu instid0(VALU_DEP_1) | instskip(SKIP_1) | instid1(VALU_DEP_2)
	v_dual_add_f32 v7, v7, v8 :: v_dual_mul_f32 v10, v38, v54
	v_fma_f32 v8, v39, v55, -v26
	v_add_f32_e32 v7, v7, v9
	s_delay_alu instid0(VALU_DEP_3) | instskip(NEXT) | instid1(VALU_DEP_1)
	v_fma_f32 v10, v37, v53, -v10
	v_dual_add_f32 v7, v7, v27 :: v_dual_add_f32 v6, v6, v10
	s_delay_alu instid0(VALU_DEP_1)
	v_add_f32_e32 v6, v6, v8
	s_cbranch_scc0 .LBB56_21
; %bb.22:                               ;   in Loop: Header=BB56_7 Depth=2
	global_load_b64 v[8:9], v[3:4], off
	v_dual_mul_f32 v5, s25, v7 :: v_dual_mul_f32 v10, s25, v6
	s_delay_alu instid0(VALU_DEP_1) | instskip(SKIP_1) | instid1(VALU_DEP_1)
	v_fma_f32 v5, s24, v6, -v5
	s_waitcnt vmcnt(0)
	v_dual_fmac_f32 v10, s24, v7 :: v_dual_add_f32 v5, v5, v8
	s_delay_alu instid0(VALU_DEP_1)
	v_add_f32_e32 v6, v10, v9
	global_store_b64 v[3:4], v[5:6], off
	s_branch .LBB56_6
.LBB56_23:
	s_endpgm
	.section	.rodata,"a",@progbits
	.p2align	6, 0x0
	.amdhsa_kernel _ZL24rocblas_symm_hemm_kernelILb1ELb0ELi32EPK19rocblas_complex_numIfEPKS3_PKPS1_EvbiiT2_T3_lllSA_lllT4_llli
		.amdhsa_group_segment_fixed_size 16384
		.amdhsa_private_segment_fixed_size 0
		.amdhsa_kernarg_size 384
		.amdhsa_user_sgpr_count 13
		.amdhsa_user_sgpr_dispatch_ptr 0
		.amdhsa_user_sgpr_queue_ptr 0
		.amdhsa_user_sgpr_kernarg_segment_ptr 1
		.amdhsa_user_sgpr_dispatch_id 0
		.amdhsa_user_sgpr_private_segment_size 0
		.amdhsa_wavefront_size32 1
		.amdhsa_uses_dynamic_stack 0
		.amdhsa_enable_private_segment 0
		.amdhsa_system_sgpr_workgroup_id_x 1
		.amdhsa_system_sgpr_workgroup_id_y 1
		.amdhsa_system_sgpr_workgroup_id_z 1
		.amdhsa_system_sgpr_workgroup_info 0
		.amdhsa_system_vgpr_workitem_id 1
		.amdhsa_next_free_vgpr 59
		.amdhsa_next_free_sgpr 32
		.amdhsa_reserve_vcc 1
		.amdhsa_float_round_mode_32 0
		.amdhsa_float_round_mode_16_64 0
		.amdhsa_float_denorm_mode_32 3
		.amdhsa_float_denorm_mode_16_64 3
		.amdhsa_dx10_clamp 1
		.amdhsa_ieee_mode 1
		.amdhsa_fp16_overflow 0
		.amdhsa_workgroup_processor_mode 1
		.amdhsa_memory_ordered 1
		.amdhsa_forward_progress 0
		.amdhsa_shared_vgpr_count 0
		.amdhsa_exception_fp_ieee_invalid_op 0
		.amdhsa_exception_fp_denorm_src 0
		.amdhsa_exception_fp_ieee_div_zero 0
		.amdhsa_exception_fp_ieee_overflow 0
		.amdhsa_exception_fp_ieee_underflow 0
		.amdhsa_exception_fp_ieee_inexact 0
		.amdhsa_exception_int_div_zero 0
	.end_amdhsa_kernel
	.section	.text._ZL24rocblas_symm_hemm_kernelILb1ELb0ELi32EPK19rocblas_complex_numIfEPKS3_PKPS1_EvbiiT2_T3_lllSA_lllT4_llli,"axG",@progbits,_ZL24rocblas_symm_hemm_kernelILb1ELb0ELi32EPK19rocblas_complex_numIfEPKS3_PKPS1_EvbiiT2_T3_lllSA_lllT4_llli,comdat
.Lfunc_end56:
	.size	_ZL24rocblas_symm_hemm_kernelILb1ELb0ELi32EPK19rocblas_complex_numIfEPKS3_PKPS1_EvbiiT2_T3_lllSA_lllT4_llli, .Lfunc_end56-_ZL24rocblas_symm_hemm_kernelILb1ELb0ELi32EPK19rocblas_complex_numIfEPKS3_PKPS1_EvbiiT2_T3_lllSA_lllT4_llli
                                        ; -- End function
	.section	.AMDGPU.csdata,"",@progbits
; Kernel info:
; codeLenInByte = 1572
; NumSgprs: 34
; NumVgprs: 59
; ScratchSize: 0
; MemoryBound: 0
; FloatMode: 240
; IeeeMode: 1
; LDSByteSize: 16384 bytes/workgroup (compile time only)
; SGPRBlocks: 4
; VGPRBlocks: 7
; NumSGPRsForWavesPerEU: 34
; NumVGPRsForWavesPerEU: 59
; Occupancy: 16
; WaveLimiterHint : 1
; COMPUTE_PGM_RSRC2:SCRATCH_EN: 0
; COMPUTE_PGM_RSRC2:USER_SGPR: 13
; COMPUTE_PGM_RSRC2:TRAP_HANDLER: 0
; COMPUTE_PGM_RSRC2:TGID_X_EN: 1
; COMPUTE_PGM_RSRC2:TGID_Y_EN: 1
; COMPUTE_PGM_RSRC2:TGID_Z_EN: 1
; COMPUTE_PGM_RSRC2:TIDIG_COMP_CNT: 1
	.section	.text._ZL24rocblas_symm_hemm_kernelILb1ELb1ELi32EPK19rocblas_complex_numIfEPKS3_PKPS1_EvbiiT2_T3_lllSA_lllT4_llli,"axG",@progbits,_ZL24rocblas_symm_hemm_kernelILb1ELb1ELi32EPK19rocblas_complex_numIfEPKS3_PKPS1_EvbiiT2_T3_lllSA_lllT4_llli,comdat
	.globl	_ZL24rocblas_symm_hemm_kernelILb1ELb1ELi32EPK19rocblas_complex_numIfEPKS3_PKPS1_EvbiiT2_T3_lllSA_lllT4_llli ; -- Begin function _ZL24rocblas_symm_hemm_kernelILb1ELb1ELi32EPK19rocblas_complex_numIfEPKS3_PKPS1_EvbiiT2_T3_lllSA_lllT4_llli
	.p2align	8
	.type	_ZL24rocblas_symm_hemm_kernelILb1ELb1ELi32EPK19rocblas_complex_numIfEPKS3_PKPS1_EvbiiT2_T3_lllSA_lllT4_llli,@function
_ZL24rocblas_symm_hemm_kernelILb1ELb1ELi32EPK19rocblas_complex_numIfEPKS3_PKPS1_EvbiiT2_T3_lllSA_lllT4_llli: ; @_ZL24rocblas_symm_hemm_kernelILb1ELb1ELi32EPK19rocblas_complex_numIfEPKS3_PKPS1_EvbiiT2_T3_lllSA_lllT4_llli
; %bb.0:
	s_load_b256 s[4:11], s[0:1], 0x10
	s_waitcnt lgkmcnt(0)
	s_load_b64 s[24:25], s[4:5], 0x0
	s_waitcnt lgkmcnt(0)
	v_cmp_eq_f32_e64 s3, s24, 0
	v_cmp_eq_f32_e64 s4, s25, 0
	s_delay_alu instid0(VALU_DEP_1) | instskip(NEXT) | instid1(SALU_CYCLE_1)
	s_and_b32 s3, s3, s4
	s_and_b32 vcc_lo, exec_lo, s3
	s_cbranch_vccnz .LBB57_23
; %bb.1:
	s_load_b128 s[16:19], s[0:1], 0x0
	s_waitcnt lgkmcnt(0)
	s_add_i32 s3, s18, -1
	s_delay_alu instid0(SALU_CYCLE_1) | instskip(NEXT) | instid1(SALU_CYCLE_1)
	s_ashr_i32 s4, s3, 31
	s_lshr_b32 s4, s4, 27
	s_delay_alu instid0(SALU_CYCLE_1) | instskip(NEXT) | instid1(SALU_CYCLE_1)
	s_add_i32 s3, s3, s4
	s_ashr_i32 s12, s3, 5
	s_delay_alu instid0(SALU_CYCLE_1)
	s_cmp_gt_i32 s14, s12
	s_cbranch_scc1 .LBB57_23
; %bb.2:
	s_mov_b32 s2, s15
	s_mov_b32 s3, 0
	v_and_b32_e32 v10, 0x3ff, v0
	s_lshl_b64 s[28:29], s[2:3], 3
	v_bfe_u32 v11, v0, 10, 10
	s_add_u32 s2, s6, s28
	s_addc_u32 s3, s7, s29
	s_load_b64 s[30:31], s[2:3], 0x0
	s_clause 0x2
	s_load_b128 s[4:7], s[0:1], 0x38
	s_load_b128 s[20:23], s[0:1], 0x58
	s_load_b64 s[26:27], s[0:1], 0x48
	s_lshl_b64 s[34:35], s[8:9], 3
	v_lshl_add_u32 v0, s13, 5, v10
	s_load_b64 s[8:9], s[0:1], 0x68
	v_lshlrev_b32_e32 v2, 3, v11
	v_lshlrev_b32_e32 v12, 8, v10
	s_delay_alu instid0(VALU_DEP_3) | instskip(NEXT) | instid1(VALU_DEP_3)
	v_ashrrev_i32_e32 v1, 31, v0
	v_or_b32_e32 v14, 0x2000, v2
	s_delay_alu instid0(VALU_DEP_3) | instskip(NEXT) | instid1(VALU_DEP_2)
	v_add_nc_u32_e32 v13, v12, v2
	v_add_nc_u32_e32 v15, v14, v12
	s_waitcnt lgkmcnt(0)
	s_add_u32 s3, s30, s34
	s_addc_u32 s15, s31, s35
	s_add_u32 s4, s4, s28
	s_addc_u32 s5, s5, s29
	;; [unrolled: 2-line block ×3, first 2 shown]
	s_load_b64 s[28:29], s[4:5], 0x0
	s_load_b32 s4, s[0:1], 0x84
	s_load_b64 s[20:21], s[20:21], 0x0
	v_cmp_gt_i32_e64 s0, s17, v0
	s_bitcmp1_b32 s16, 0
	v_lshlrev_b64 v[0:1], 3, v[0:1]
	s_cselect_b32 s1, -1, 0
	s_lshl_b64 s[16:17], s[22:23], 3
	s_waitcnt lgkmcnt(0)
	s_add_u32 s2, s20, s16
	s_addc_u32 s5, s21, s17
	s_lshl_b64 s[6:7], s[6:7], 3
	v_add_co_u32 v16, vcc_lo, s2, v0
	s_add_u32 s6, s28, s6
	v_add_co_ci_u32_e32 v17, vcc_lo, s5, v1, vcc_lo
	s_addc_u32 s2, s29, s7
	v_add_co_u32 v18, vcc_lo, s6, v0
	v_add_co_ci_u32_e32 v19, vcc_lo, s2, v1, vcc_lo
	s_cmp_gt_i32 s18, 0
	s_cselect_b32 s5, -1, 0
	s_branch .LBB57_4
.LBB57_3:                               ;   in Loop: Header=BB57_4 Depth=1
	s_add_i32 s14, s14, s4
	s_delay_alu instid0(SALU_CYCLE_1)
	s_cmp_gt_i32 s14, s12
	s_cbranch_scc1 .LBB57_23
.LBB57_4:                               ; =>This Loop Header: Depth=1
                                        ;     Child Loop BB57_7 Depth 2
                                        ;       Child Loop BB57_21 Depth 3
	s_and_not1_b32 vcc_lo, exec_lo, s5
	s_cbranch_vccnz .LBB57_3
; %bb.5:                                ;   in Loop: Header=BB57_4 Depth=1
	v_lshl_add_u32 v0, s14, 5, v11
	s_mov_b32 s7, 0
	s_delay_alu instid0(VALU_DEP_1) | instskip(SKIP_3) | instid1(VALU_DEP_4)
	v_ashrrev_i32_e32 v1, 31, v0
	v_mul_lo_u32 v6, v0, s11
	v_mad_u64_u32 v[2:3], null, v0, s10, 0
	v_mul_lo_u32 v8, v0, s9
	v_mul_lo_u32 v7, v1, s10
	v_mad_u64_u32 v[4:5], null, v0, s8, 0
	v_mul_lo_u32 v9, v1, s8
	v_cmp_gt_i32_e32 vcc_lo, s18, v0
	s_delay_alu instid0(VALU_DEP_4) | instskip(SKIP_2) | instid1(VALU_DEP_4)
	v_add3_u32 v3, v3, v6, v7
	v_lshlrev_b64 v[6:7], 3, v[0:1]
	s_and_b32 s6, s0, vcc_lo
	v_add3_u32 v5, v5, v8, v9
	s_delay_alu instid0(VALU_DEP_3) | instskip(NEXT) | instid1(VALU_DEP_3)
	v_lshlrev_b64 v[1:2], 3, v[2:3]
	v_add_co_u32 v20, s2, s3, v6
	s_delay_alu instid0(VALU_DEP_3) | instskip(SKIP_1) | instid1(VALU_DEP_4)
	v_lshlrev_b64 v[3:4], 3, v[4:5]
	v_add_co_ci_u32_e64 v21, s2, s15, v7, s2
	v_add_co_u32 v22, s2, s3, v1
	s_delay_alu instid0(VALU_DEP_1) | instskip(NEXT) | instid1(VALU_DEP_4)
	v_add_co_ci_u32_e64 v23, s2, s15, v2, s2
	v_add_co_u32 v1, s2, v16, v3
	s_delay_alu instid0(VALU_DEP_1) | instskip(NEXT) | instid1(VALU_DEP_4)
	v_add_co_ci_u32_e64 v2, s2, v17, v4, s2
	v_add_co_u32 v3, s2, v22, v6
	s_delay_alu instid0(VALU_DEP_1)
	v_add_co_ci_u32_e64 v4, s2, v23, v7, s2
	s_branch .LBB57_7
.LBB57_6:                               ;   in Loop: Header=BB57_7 Depth=2
	s_or_b32 exec_lo, exec_lo, s2
	s_add_i32 s7, s7, 32
	s_waitcnt_vscnt null, 0x0
	s_cmp_ge_i32 s7, s18
	s_barrier
	buffer_gl0_inv
	s_cbranch_scc1 .LBB57_3
.LBB57_7:                               ;   Parent Loop BB57_4 Depth=1
                                        ; =>  This Loop Header: Depth=2
                                        ;       Child Loop BB57_21 Depth 3
	v_dual_mov_b32 v5, 0 :: v_dual_add_nc_u32 v6, s7, v11
	v_dual_mov_b32 v8, 0 :: v_dual_mov_b32 v9, 0
	s_delay_alu instid0(VALU_DEP_2) | instskip(SKIP_1) | instid1(SALU_CYCLE_1)
	v_cmp_gt_i32_e32 vcc_lo, s18, v6
	s_and_b32 s13, s0, vcc_lo
	s_and_saveexec_b32 s2, s13
	s_cbranch_execz .LBB57_9
; %bb.8:                                ;   in Loop: Header=BB57_7 Depth=2
	v_ashrrev_i32_e32 v9, 31, v6
	v_mul_lo_u32 v24, v6, s27
	v_mad_u64_u32 v[7:8], null, v6, s26, 0
	s_delay_alu instid0(VALU_DEP_3) | instskip(NEXT) | instid1(VALU_DEP_1)
	v_mul_lo_u32 v6, v9, s26
	v_add3_u32 v8, v8, v24, v6
	s_delay_alu instid0(VALU_DEP_1) | instskip(NEXT) | instid1(VALU_DEP_1)
	v_lshlrev_b64 v[6:7], 3, v[7:8]
	v_add_co_u32 v6, vcc_lo, v18, v6
	s_delay_alu instid0(VALU_DEP_2)
	v_add_co_ci_u32_e32 v7, vcc_lo, v19, v7, vcc_lo
	global_load_b64 v[8:9], v[6:7], off
.LBB57_9:                               ;   in Loop: Header=BB57_7 Depth=2
	s_or_b32 exec_lo, exec_lo, s2
	v_add_nc_u32_e32 v7, s7, v10
	s_mov_b32 s13, exec_lo
	s_waitcnt vmcnt(0)
	ds_store_b64 v13, v[8:9]
	v_cndmask_b32_e64 v6, v0, v7, s1
	v_cndmask_b32_e64 v24, v7, v0, s1
	s_delay_alu instid0(VALU_DEP_1) | instskip(SKIP_3) | instid1(VALU_DEP_3)
	v_cmp_gt_i32_e32 vcc_lo, v6, v24
	v_dual_cndmask_b32 v25, v7, v0 :: v_dual_cndmask_b32 v26, v0, v7
	v_cmp_le_i32_e32 vcc_lo, v6, v24
	v_mov_b32_e32 v6, 0
	v_max_i32_e32 v25, v25, v26
	s_delay_alu instid0(VALU_DEP_1)
	v_cmpx_gt_i32_e64 s18, v25
	s_cbranch_execz .LBB57_19
; %bb.10:                               ;   in Loop: Header=BB57_7 Depth=2
                                        ; implicit-def: $vgpr6
	s_and_saveexec_b32 s2, vcc_lo
	s_delay_alu instid0(SALU_CYCLE_1)
	s_xor_b32 s2, exec_lo, s2
	s_cbranch_execz .LBB57_16
; %bb.11:                               ;   in Loop: Header=BB57_7 Depth=2
	s_mov_b32 s16, exec_lo
                                        ; implicit-def: $vgpr6
	v_cmpx_ne_u32_e64 v7, v0
	s_xor_b32 s16, exec_lo, s16
	s_cbranch_execz .LBB57_13
; %bb.12:                               ;   in Loop: Header=BB57_7 Depth=2
	v_ashrrev_i32_e32 v8, 31, v7
	s_delay_alu instid0(VALU_DEP_1) | instskip(NEXT) | instid1(VALU_DEP_1)
	v_lshlrev_b64 v[5:6], 3, v[7:8]
	v_add_co_u32 v5, vcc_lo, v22, v5
	s_delay_alu instid0(VALU_DEP_2)
	v_add_co_ci_u32_e32 v6, vcc_lo, v23, v6, vcc_lo
	global_load_b64 v[5:6], v[5:6], off
.LBB57_13:                              ;   in Loop: Header=BB57_7 Depth=2
	s_and_not1_saveexec_b32 s16, s16
	s_cbranch_execz .LBB57_15
; %bb.14:                               ;   in Loop: Header=BB57_7 Depth=2
	global_load_b32 v5, v[3:4], off
	s_waitcnt vmcnt(1)
	v_mov_b32_e32 v6, 0
.LBB57_15:                              ;   in Loop: Header=BB57_7 Depth=2
	s_or_b32 exec_lo, exec_lo, s16
                                        ; implicit-def: $vgpr7
.LBB57_16:                              ;   in Loop: Header=BB57_7 Depth=2
	s_and_not1_saveexec_b32 s2, s2
	s_cbranch_execz .LBB57_18
; %bb.17:                               ;   in Loop: Header=BB57_7 Depth=2
	v_ashrrev_i32_e32 v8, 31, v7
	v_mul_lo_u32 v9, v7, s11
	s_waitcnt vmcnt(0)
	v_mad_u64_u32 v[5:6], null, v7, s10, 0
	s_delay_alu instid0(VALU_DEP_3) | instskip(NEXT) | instid1(VALU_DEP_1)
	v_mul_lo_u32 v7, v8, s10
	v_add3_u32 v6, v6, v9, v7
	s_delay_alu instid0(VALU_DEP_1) | instskip(NEXT) | instid1(VALU_DEP_1)
	v_lshlrev_b64 v[5:6], 3, v[5:6]
	v_add_co_u32 v5, vcc_lo, v20, v5
	s_delay_alu instid0(VALU_DEP_2)
	v_add_co_ci_u32_e32 v6, vcc_lo, v21, v6, vcc_lo
	global_load_b64 v[5:6], v[5:6], off
	s_waitcnt vmcnt(0)
	v_xor_b32_e32 v6, 0x80000000, v6
.LBB57_18:                              ;   in Loop: Header=BB57_7 Depth=2
	s_or_b32 exec_lo, exec_lo, s2
.LBB57_19:                              ;   in Loop: Header=BB57_7 Depth=2
	s_delay_alu instid0(SALU_CYCLE_1)
	s_or_b32 exec_lo, exec_lo, s13
	s_waitcnt vmcnt(0)
	ds_store_b64 v15, v[5:6]
	s_waitcnt lgkmcnt(0)
	s_barrier
	buffer_gl0_inv
	s_and_saveexec_b32 s2, s6
	s_cbranch_execz .LBB57_6
; %bb.20:                               ;   in Loop: Header=BB57_7 Depth=2
	v_dual_mov_b32 v6, 0 :: v_dual_mov_b32 v5, v14
	v_mov_b32_e32 v7, 0
	s_mov_b32 s13, 0
.LBB57_21:                              ;   Parent Loop BB57_4 Depth=1
                                        ;     Parent Loop BB57_7 Depth=2
                                        ; =>    This Inner Loop Header: Depth=3
	s_delay_alu instid0(SALU_CYCLE_1)
	v_add_nc_u32_e32 v8, s13, v12
	ds_load_2addr_b64 v[24:27], v5 offset1:32
	ds_load_2addr_b64 v[28:31], v5 offset0:64 offset1:96
	ds_load_2addr_b64 v[32:35], v5 offset0:128 offset1:160
	;; [unrolled: 1-line block ×3, first 2 shown]
	ds_load_b128 v[40:43], v8
	ds_load_b128 v[44:47], v8 offset:16
	ds_load_b128 v[48:51], v8 offset:32
	;; [unrolled: 1-line block ×3, first 2 shown]
	v_add_nc_u32_e32 v5, 0x800, v5
	s_add_i32 s13, s13, 64
	s_delay_alu instid0(SALU_CYCLE_1)
	s_cmpk_eq_i32 s13, 0x100
	s_waitcnt lgkmcnt(3)
	v_mul_f32_e32 v9, v24, v41
	v_dual_mul_f32 v8, v25, v41 :: v_dual_mul_f32 v41, v27, v43
	s_waitcnt lgkmcnt(2)
	v_dual_mul_f32 v43, v26, v43 :: v_dual_mul_f32 v56, v29, v45
	s_waitcnt lgkmcnt(1)
	v_dual_mul_f32 v57, v31, v47 :: v_dual_mul_f32 v58, v33, v49
	v_fma_f32 v8, v24, v40, -v8
	v_mul_f32_e32 v49, v32, v49
	v_fmac_f32_e32 v9, v25, v40
	v_fma_f32 v25, v26, v42, -v41
	v_dual_mul_f32 v45, v28, v45 :: v_dual_mul_f32 v24, v35, v51
	v_dual_add_f32 v6, v6, v8 :: v_dual_fmac_f32 v43, v27, v42
	v_mul_f32_e32 v8, v34, v51
	v_fma_f32 v26, v30, v46, -v57
	v_add_f32_e32 v7, v7, v9
	v_fma_f32 v9, v28, v44, -v56
	v_dual_add_f32 v6, v6, v25 :: v_dual_fmac_f32 v45, v29, v44
	v_dual_mul_f32 v47, v30, v47 :: v_dual_fmac_f32 v8, v35, v50
	v_fma_f32 v27, v32, v48, -v58
	s_delay_alu instid0(VALU_DEP_3) | instskip(SKIP_3) | instid1(VALU_DEP_3)
	v_add_f32_e32 v6, v6, v9
	s_waitcnt lgkmcnt(0)
	v_mul_f32_e32 v25, v37, v53
	v_fma_f32 v24, v34, v50, -v24
	v_dual_mul_f32 v9, v36, v53 :: v_dual_add_f32 v6, v6, v26
	v_mul_f32_e32 v26, v39, v55
	v_fmac_f32_e32 v47, v31, v46
	v_fma_f32 v25, v36, v52, -v25
	s_delay_alu instid0(VALU_DEP_4) | instskip(SKIP_2) | instid1(VALU_DEP_3)
	v_dual_fmac_f32 v9, v37, v52 :: v_dual_add_f32 v6, v6, v27
	v_add_f32_e32 v7, v7, v43
	v_mul_f32_e32 v27, v38, v55
	v_add_f32_e32 v6, v6, v24
	v_fmac_f32_e32 v49, v33, v48
	s_delay_alu instid0(VALU_DEP_2) | instskip(SKIP_1) | instid1(VALU_DEP_1)
	v_dual_fmac_f32 v27, v39, v54 :: v_dual_add_f32 v6, v6, v25
	v_add_f32_e32 v7, v7, v45
	v_add_f32_e32 v7, v7, v47
	s_delay_alu instid0(VALU_DEP_1) | instskip(NEXT) | instid1(VALU_DEP_1)
	v_add_f32_e32 v7, v7, v49
	v_add_f32_e32 v7, v7, v8
	v_fma_f32 v8, v38, v54, -v26
	s_delay_alu instid0(VALU_DEP_1) | instskip(NEXT) | instid1(VALU_DEP_1)
	v_dual_add_f32 v7, v7, v9 :: v_dual_add_f32 v6, v6, v8
	v_add_f32_e32 v7, v7, v27
	s_cbranch_scc0 .LBB57_21
; %bb.22:                               ;   in Loop: Header=BB57_7 Depth=2
	global_load_b64 v[8:9], v[1:2], off
	v_dual_mul_f32 v5, s25, v7 :: v_dual_mul_f32 v24, s25, v6
	s_delay_alu instid0(VALU_DEP_1) | instskip(SKIP_1) | instid1(VALU_DEP_1)
	v_fma_f32 v5, s24, v6, -v5
	s_waitcnt vmcnt(0)
	v_dual_fmac_f32 v24, s24, v7 :: v_dual_add_f32 v5, v5, v8
	s_delay_alu instid0(VALU_DEP_1)
	v_add_f32_e32 v6, v24, v9
	global_store_b64 v[1:2], v[5:6], off
	s_branch .LBB57_6
.LBB57_23:
	s_endpgm
	.section	.rodata,"a",@progbits
	.p2align	6, 0x0
	.amdhsa_kernel _ZL24rocblas_symm_hemm_kernelILb1ELb1ELi32EPK19rocblas_complex_numIfEPKS3_PKPS1_EvbiiT2_T3_lllSA_lllT4_llli
		.amdhsa_group_segment_fixed_size 16384
		.amdhsa_private_segment_fixed_size 0
		.amdhsa_kernarg_size 384
		.amdhsa_user_sgpr_count 13
		.amdhsa_user_sgpr_dispatch_ptr 0
		.amdhsa_user_sgpr_queue_ptr 0
		.amdhsa_user_sgpr_kernarg_segment_ptr 1
		.amdhsa_user_sgpr_dispatch_id 0
		.amdhsa_user_sgpr_private_segment_size 0
		.amdhsa_wavefront_size32 1
		.amdhsa_uses_dynamic_stack 0
		.amdhsa_enable_private_segment 0
		.amdhsa_system_sgpr_workgroup_id_x 1
		.amdhsa_system_sgpr_workgroup_id_y 1
		.amdhsa_system_sgpr_workgroup_id_z 1
		.amdhsa_system_sgpr_workgroup_info 0
		.amdhsa_system_vgpr_workitem_id 1
		.amdhsa_next_free_vgpr 59
		.amdhsa_next_free_sgpr 36
		.amdhsa_reserve_vcc 1
		.amdhsa_float_round_mode_32 0
		.amdhsa_float_round_mode_16_64 0
		.amdhsa_float_denorm_mode_32 3
		.amdhsa_float_denorm_mode_16_64 3
		.amdhsa_dx10_clamp 1
		.amdhsa_ieee_mode 1
		.amdhsa_fp16_overflow 0
		.amdhsa_workgroup_processor_mode 1
		.amdhsa_memory_ordered 1
		.amdhsa_forward_progress 0
		.amdhsa_shared_vgpr_count 0
		.amdhsa_exception_fp_ieee_invalid_op 0
		.amdhsa_exception_fp_denorm_src 0
		.amdhsa_exception_fp_ieee_div_zero 0
		.amdhsa_exception_fp_ieee_overflow 0
		.amdhsa_exception_fp_ieee_underflow 0
		.amdhsa_exception_fp_ieee_inexact 0
		.amdhsa_exception_int_div_zero 0
	.end_amdhsa_kernel
	.section	.text._ZL24rocblas_symm_hemm_kernelILb1ELb1ELi32EPK19rocblas_complex_numIfEPKS3_PKPS1_EvbiiT2_T3_lllSA_lllT4_llli,"axG",@progbits,_ZL24rocblas_symm_hemm_kernelILb1ELb1ELi32EPK19rocblas_complex_numIfEPKS3_PKPS1_EvbiiT2_T3_lllSA_lllT4_llli,comdat
.Lfunc_end57:
	.size	_ZL24rocblas_symm_hemm_kernelILb1ELb1ELi32EPK19rocblas_complex_numIfEPKS3_PKPS1_EvbiiT2_T3_lllSA_lllT4_llli, .Lfunc_end57-_ZL24rocblas_symm_hemm_kernelILb1ELb1ELi32EPK19rocblas_complex_numIfEPKS3_PKPS1_EvbiiT2_T3_lllSA_lllT4_llli
                                        ; -- End function
	.section	.AMDGPU.csdata,"",@progbits
; Kernel info:
; codeLenInByte = 1524
; NumSgprs: 38
; NumVgprs: 59
; ScratchSize: 0
; MemoryBound: 0
; FloatMode: 240
; IeeeMode: 1
; LDSByteSize: 16384 bytes/workgroup (compile time only)
; SGPRBlocks: 4
; VGPRBlocks: 7
; NumSGPRsForWavesPerEU: 38
; NumVGPRsForWavesPerEU: 59
; Occupancy: 16
; WaveLimiterHint : 1
; COMPUTE_PGM_RSRC2:SCRATCH_EN: 0
; COMPUTE_PGM_RSRC2:USER_SGPR: 13
; COMPUTE_PGM_RSRC2:TRAP_HANDLER: 0
; COMPUTE_PGM_RSRC2:TGID_X_EN: 1
; COMPUTE_PGM_RSRC2:TGID_Y_EN: 1
; COMPUTE_PGM_RSRC2:TGID_Z_EN: 1
; COMPUTE_PGM_RSRC2:TIDIG_COMP_CNT: 1
	.section	.text._ZL24rocblas_symm_hemm_kernelILb1ELb0ELi32E19rocblas_complex_numIfEPKPKS1_PKPS1_EvbiiT2_T3_lllSA_lllT4_llli,"axG",@progbits,_ZL24rocblas_symm_hemm_kernelILb1ELb0ELi32E19rocblas_complex_numIfEPKPKS1_PKPS1_EvbiiT2_T3_lllSA_lllT4_llli,comdat
	.globl	_ZL24rocblas_symm_hemm_kernelILb1ELb0ELi32E19rocblas_complex_numIfEPKPKS1_PKPS1_EvbiiT2_T3_lllSA_lllT4_llli ; -- Begin function _ZL24rocblas_symm_hemm_kernelILb1ELb0ELi32E19rocblas_complex_numIfEPKPKS1_PKPS1_EvbiiT2_T3_lllSA_lllT4_llli
	.p2align	8
	.type	_ZL24rocblas_symm_hemm_kernelILb1ELb0ELi32E19rocblas_complex_numIfEPKPKS1_PKPS1_EvbiiT2_T3_lllSA_lllT4_llli,@function
_ZL24rocblas_symm_hemm_kernelILb1ELb0ELi32E19rocblas_complex_numIfEPKPKS1_PKPS1_EvbiiT2_T3_lllSA_lllT4_llli: ; @_ZL24rocblas_symm_hemm_kernelILb1ELb0ELi32E19rocblas_complex_numIfEPKPKS1_PKPS1_EvbiiT2_T3_lllSA_lllT4_llli
; %bb.0:
	s_clause 0x1
	s_load_b128 s[4:7], s[0:1], 0x0
	s_load_b32 s12, s[0:1], 0x10
	s_waitcnt lgkmcnt(0)
	v_cmp_eq_f32_e64 s3, s7, 0
	v_cmp_eq_f32_e64 s8, s12, 0
	s_delay_alu instid0(VALU_DEP_1) | instskip(NEXT) | instid1(SALU_CYCLE_1)
	s_and_b32 s3, s3, s8
	s_and_b32 vcc_lo, exec_lo, s3
	s_cbranch_vccnz .LBB58_23
; %bb.1:
	s_add_i32 s3, s6, -1
	s_mov_b32 s2, s15
	s_ashr_i32 s8, s3, 31
	s_delay_alu instid0(SALU_CYCLE_1) | instskip(NEXT) | instid1(SALU_CYCLE_1)
	s_lshr_b32 s8, s8, 27
	s_add_i32 s3, s3, s8
	s_delay_alu instid0(SALU_CYCLE_1) | instskip(NEXT) | instid1(SALU_CYCLE_1)
	s_ashr_i32 s15, s3, 5
	s_cmp_gt_i32 s14, s15
	s_cbranch_scc1 .LBB58_23
; %bb.2:
	s_clause 0x1
	s_load_b128 s[8:11], s[0:1], 0x18
	s_load_b128 s[20:23], s[0:1], 0x38
	s_mov_b32 s3, 0
	s_clause 0x1
	s_load_b64 s[24:25], s[0:1], 0x28
	s_load_b64 s[26:27], s[0:1], 0x48
	s_lshl_b64 s[2:3], s[2:3], 3
	v_and_b32_e32 v11, 0x3ff, v0
	v_bfe_u32 v12, v0, 10, 10
	s_delay_alu instid0(VALU_DEP_2) | instskip(NEXT) | instid1(VALU_DEP_2)
	v_lshl_add_u32 v0, s13, 5, v11
	v_lshlrev_b32_e32 v4, 3, v12
	v_lshlrev_b32_e32 v13, 8, v11
	s_delay_alu instid0(VALU_DEP_3) | instskip(NEXT) | instid1(VALU_DEP_3)
	v_ashrrev_i32_e32 v1, 31, v0
	v_or_b32_e32 v15, 0x2000, v4
	s_delay_alu instid0(VALU_DEP_3)
	v_add_nc_u32_e32 v14, v13, v4
	s_waitcnt lgkmcnt(0)
	s_add_u32 s8, s8, s2
	s_addc_u32 s9, s9, s3
	s_add_u32 s16, s20, s2
	s_addc_u32 s17, s21, s3
	s_lshl_b64 s[22:23], s[22:23], 3
	s_load_b64 s[20:21], s[16:17], 0x0
	s_load_b128 s[16:19], s[0:1], 0x58
	v_mul_lo_u32 v6, v1, s24
	v_mul_lo_u32 v7, v0, s25
	v_mad_u64_u32 v[2:3], null, v0, s24, 0
	v_lshlrev_b64 v[4:5], 3, v[0:1]
	v_add_nc_u32_e32 v16, v15, v13
	s_delay_alu instid0(VALU_DEP_3) | instskip(NEXT) | instid1(VALU_DEP_1)
	v_add3_u32 v3, v3, v7, v6
	v_lshlrev_b64 v[1:2], 3, v[2:3]
	s_waitcnt lgkmcnt(0)
	s_add_u32 s13, s20, s22
	s_addc_u32 s20, s21, s23
	s_add_u32 s2, s16, s2
	s_addc_u32 s3, s17, s3
	s_load_b64 s[22:23], s[8:9], 0x0
	s_load_b64 s[2:3], s[2:3], 0x0
	s_bitcmp1_b32 s4, 0
	s_clause 0x1
	s_load_b64 s[8:9], s[0:1], 0x68
	s_load_b32 s16, s[0:1], 0x84
	s_cselect_b32 s1, -1, 0
	s_lshl_b64 s[18:19], s[18:19], 3
	v_cmp_gt_i32_e64 s0, s5, v0
	s_waitcnt lgkmcnt(0)
	s_add_u32 s4, s2, s18
	s_addc_u32 s17, s3, s19
	s_lshl_b64 s[2:3], s[10:11], 3
	v_add_co_u32 v17, vcc_lo, s4, v4
	s_add_u32 s2, s22, s2
	v_add_co_ci_u32_e32 v18, vcc_lo, s17, v5, vcc_lo
	s_addc_u32 s3, s23, s3
	v_add_co_u32 v19, vcc_lo, s2, v4
	v_add_co_ci_u32_e32 v20, vcc_lo, s3, v5, vcc_lo
	v_add_co_u32 v21, vcc_lo, s2, v1
	v_add_co_ci_u32_e32 v22, vcc_lo, s3, v2, vcc_lo
	s_delay_alu instid0(VALU_DEP_4) | instskip(NEXT) | instid1(VALU_DEP_4)
	v_add_co_u32 v1, vcc_lo, v19, v1
	v_add_co_ci_u32_e32 v2, vcc_lo, v20, v2, vcc_lo
	s_cmp_gt_i32 s5, 0
	s_cselect_b32 s4, -1, 0
	s_branch .LBB58_4
.LBB58_3:                               ;   in Loop: Header=BB58_4 Depth=1
	s_add_i32 s14, s14, s16
	s_delay_alu instid0(SALU_CYCLE_1)
	s_cmp_gt_i32 s14, s15
	s_cbranch_scc1 .LBB58_23
.LBB58_4:                               ; =>This Loop Header: Depth=1
                                        ;     Child Loop BB58_7 Depth 2
                                        ;       Child Loop BB58_21 Depth 3
	s_and_not1_b32 vcc_lo, exec_lo, s4
	s_cbranch_vccnz .LBB58_3
; %bb.5:                                ;   in Loop: Header=BB58_4 Depth=1
	v_lshl_add_u32 v7, s14, 5, v12
	s_mov_b32 s11, 0
	s_delay_alu instid0(VALU_DEP_1) | instskip(SKIP_3) | instid1(VALU_DEP_4)
	v_ashrrev_i32_e32 v8, 31, v7
	v_mul_lo_u32 v9, v7, s27
	v_mad_u64_u32 v[3:4], null, v7, s26, 0
	v_mul_lo_u32 v23, v7, s9
	v_mul_lo_u32 v10, v8, s26
	v_mad_u64_u32 v[5:6], null, v7, s8, 0
	v_mul_lo_u32 v8, v8, s8
	v_cmp_gt_i32_e32 vcc_lo, s6, v7
	s_delay_alu instid0(VALU_DEP_4) | instskip(SKIP_1) | instid1(VALU_DEP_3)
	v_add3_u32 v4, v4, v9, v10
	s_and_b32 s10, s0, vcc_lo
	v_add3_u32 v6, v6, v23, v8
	s_delay_alu instid0(VALU_DEP_2) | instskip(NEXT) | instid1(VALU_DEP_2)
	v_lshlrev_b64 v[3:4], 3, v[3:4]
	v_lshlrev_b64 v[5:6], 3, v[5:6]
	s_delay_alu instid0(VALU_DEP_2) | instskip(NEXT) | instid1(VALU_DEP_1)
	v_add_co_u32 v23, s2, s13, v3
	v_add_co_ci_u32_e64 v24, s2, s20, v4, s2
	s_delay_alu instid0(VALU_DEP_3) | instskip(NEXT) | instid1(VALU_DEP_1)
	v_add_co_u32 v3, s2, v17, v5
	v_add_co_ci_u32_e64 v4, s2, v18, v6, s2
	s_branch .LBB58_7
.LBB58_6:                               ;   in Loop: Header=BB58_7 Depth=2
	s_or_b32 exec_lo, exec_lo, s2
	s_add_i32 s11, s11, 32
	s_waitcnt_vscnt null, 0x0
	s_cmp_ge_i32 s11, s5
	s_barrier
	buffer_gl0_inv
	s_cbranch_scc1 .LBB58_3
.LBB58_7:                               ;   Parent Loop BB58_4 Depth=1
                                        ; =>  This Loop Header: Depth=2
                                        ;       Child Loop BB58_21 Depth 3
	v_add_nc_u32_e32 v6, s11, v12
	s_mov_b32 s17, exec_lo
	s_delay_alu instid0(VALU_DEP_1) | instskip(SKIP_1) | instid1(VALU_DEP_1)
	v_cndmask_b32_e64 v8, v6, v0, s1
	v_cndmask_b32_e64 v9, v0, v6, s1
	v_cmp_gt_i32_e64 s2, v8, v9
	s_delay_alu instid0(VALU_DEP_1) | instskip(SKIP_3) | instid1(VALU_DEP_3)
	v_cndmask_b32_e64 v5, v0, v6, s2
	v_cndmask_b32_e64 v7, v6, v0, s2
	v_cmp_le_i32_e64 s2, v8, v9
	v_mov_b32_e32 v8, 0
	v_max_i32_e32 v10, v5, v7
	v_mov_b32_e32 v5, 0
	v_mov_b32_e32 v7, 0
	s_delay_alu instid0(VALU_DEP_3)
	v_cmpx_gt_i32_e64 s5, v10
	s_cbranch_execz .LBB58_17
; %bb.8:                                ;   in Loop: Header=BB58_7 Depth=2
                                        ; implicit-def: $vgpr8
	s_and_saveexec_b32 s3, s2
	s_delay_alu instid0(SALU_CYCLE_1)
	s_xor_b32 s3, exec_lo, s3
	s_cbranch_execz .LBB58_14
; %bb.9:                                ;   in Loop: Header=BB58_7 Depth=2
	s_mov_b32 s18, exec_lo
                                        ; implicit-def: $vgpr8
	v_cmpx_ne_u32_e64 v0, v6
	s_xor_b32 s18, exec_lo, s18
	s_cbranch_execz .LBB58_11
; %bb.10:                               ;   in Loop: Header=BB58_7 Depth=2
	v_ashrrev_i32_e32 v9, 31, v6
	v_mul_lo_u32 v10, v6, s25
	v_mad_u64_u32 v[7:8], null, v6, s24, 0
	s_delay_alu instid0(VALU_DEP_3) | instskip(NEXT) | instid1(VALU_DEP_1)
	v_mul_lo_u32 v6, v9, s24
	v_add3_u32 v8, v8, v10, v6
	s_delay_alu instid0(VALU_DEP_1) | instskip(NEXT) | instid1(VALU_DEP_1)
	v_lshlrev_b64 v[6:7], 3, v[7:8]
	v_add_co_u32 v6, s2, v19, v6
	s_delay_alu instid0(VALU_DEP_1)
	v_add_co_ci_u32_e64 v7, s2, v20, v7, s2
	global_load_b64 v[7:8], v[6:7], off
.LBB58_11:                              ;   in Loop: Header=BB58_7 Depth=2
	s_and_not1_saveexec_b32 s2, s18
	s_cbranch_execz .LBB58_13
; %bb.12:                               ;   in Loop: Header=BB58_7 Depth=2
	global_load_b32 v7, v[1:2], off
	s_waitcnt vmcnt(1)
	v_mov_b32_e32 v8, 0
.LBB58_13:                              ;   in Loop: Header=BB58_7 Depth=2
	s_or_b32 exec_lo, exec_lo, s2
                                        ; implicit-def: $vgpr6
.LBB58_14:                              ;   in Loop: Header=BB58_7 Depth=2
	s_and_not1_saveexec_b32 s3, s3
	s_cbranch_execz .LBB58_16
; %bb.15:                               ;   in Loop: Header=BB58_7 Depth=2
	s_waitcnt vmcnt(0)
	v_ashrrev_i32_e32 v7, 31, v6
	s_delay_alu instid0(VALU_DEP_1) | instskip(NEXT) | instid1(VALU_DEP_1)
	v_lshlrev_b64 v[6:7], 3, v[6:7]
	v_add_co_u32 v6, s2, v21, v6
	s_delay_alu instid0(VALU_DEP_1)
	v_add_co_ci_u32_e64 v7, s2, v22, v7, s2
	global_load_b64 v[7:8], v[6:7], off
	s_waitcnt vmcnt(0)
	v_xor_b32_e32 v8, 0x80000000, v8
.LBB58_16:                              ;   in Loop: Header=BB58_7 Depth=2
	s_or_b32 exec_lo, exec_lo, s3
.LBB58_17:                              ;   in Loop: Header=BB58_7 Depth=2
	s_delay_alu instid0(SALU_CYCLE_1) | instskip(SKIP_4) | instid1(VALU_DEP_1)
	s_or_b32 exec_lo, exec_lo, s17
	v_dual_mov_b32 v6, 0 :: v_dual_add_nc_u32 v9, s11, v11
	s_waitcnt vmcnt(0)
	ds_store_b64 v14, v[7:8]
	v_cmp_gt_i32_e64 s2, s5, v9
	s_and_b32 s2, s2, vcc_lo
	s_delay_alu instid0(SALU_CYCLE_1)
	s_and_saveexec_b32 s3, s2
	s_cbranch_execz .LBB58_19
; %bb.18:                               ;   in Loop: Header=BB58_7 Depth=2
	v_ashrrev_i32_e32 v10, 31, v9
	s_delay_alu instid0(VALU_DEP_1) | instskip(NEXT) | instid1(VALU_DEP_1)
	v_lshlrev_b64 v[5:6], 3, v[9:10]
	v_add_co_u32 v5, s2, v23, v5
	s_delay_alu instid0(VALU_DEP_1)
	v_add_co_ci_u32_e64 v6, s2, v24, v6, s2
	global_load_b64 v[5:6], v[5:6], off
.LBB58_19:                              ;   in Loop: Header=BB58_7 Depth=2
	s_or_b32 exec_lo, exec_lo, s3
	s_waitcnt vmcnt(0)
	ds_store_b64 v16, v[5:6]
	s_waitcnt lgkmcnt(0)
	s_barrier
	buffer_gl0_inv
	s_and_saveexec_b32 s2, s10
	s_cbranch_execz .LBB58_6
; %bb.20:                               ;   in Loop: Header=BB58_7 Depth=2
	v_dual_mov_b32 v6, 0 :: v_dual_mov_b32 v5, v15
	v_mov_b32_e32 v7, 0
	s_mov_b32 s3, 0
.LBB58_21:                              ;   Parent Loop BB58_4 Depth=1
                                        ;     Parent Loop BB58_7 Depth=2
                                        ; =>    This Inner Loop Header: Depth=3
	s_delay_alu instid0(SALU_CYCLE_1)
	v_add_nc_u32_e32 v8, s3, v13
	ds_load_2addr_b64 v[25:28], v5 offset1:32
	ds_load_2addr_b64 v[29:32], v5 offset0:64 offset1:96
	ds_load_2addr_b64 v[33:36], v5 offset0:128 offset1:160
	;; [unrolled: 1-line block ×3, first 2 shown]
	ds_load_b128 v[41:44], v8
	ds_load_b128 v[45:48], v8 offset:16
	ds_load_b128 v[49:52], v8 offset:32
	;; [unrolled: 1-line block ×3, first 2 shown]
	s_add_i32 s3, s3, 64
	v_add_nc_u32_e32 v5, 0x800, v5
	s_cmpk_eq_i32 s3, 0x100
	s_waitcnt lgkmcnt(3)
	v_mul_f32_e32 v9, v25, v42
	s_waitcnt lgkmcnt(2)
	v_dual_mul_f32 v8, v26, v42 :: v_dual_mul_f32 v57, v32, v48
	v_mul_f32_e32 v10, v28, v44
	s_delay_alu instid0(VALU_DEP_3) | instskip(NEXT) | instid1(VALU_DEP_3)
	v_dual_mul_f32 v42, v27, v44 :: v_dual_fmac_f32 v9, v26, v41
	v_fma_f32 v8, v25, v41, -v8
	s_waitcnt lgkmcnt(1)
	v_dual_mul_f32 v44, v30, v46 :: v_dual_mul_f32 v25, v36, v52
	s_delay_alu instid0(VALU_DEP_3) | instskip(SKIP_2) | instid1(VALU_DEP_4)
	v_dual_mul_f32 v46, v29, v46 :: v_dual_add_f32 v7, v7, v9
	v_fma_f32 v10, v27, v43, -v10
	v_add_f32_e32 v6, v6, v8
	v_fma_f32 v9, v29, v45, -v44
	s_delay_alu instid0(VALU_DEP_4) | instskip(SKIP_4) | instid1(VALU_DEP_1)
	v_fmac_f32_e32 v46, v30, v45
	v_fma_f32 v26, v31, v47, -v57
	v_fma_f32 v25, v35, v51, -v25
	v_add_f32_e32 v6, v6, v10
	s_waitcnt lgkmcnt(0)
	v_dual_add_f32 v6, v6, v9 :: v_dual_mul_f32 v9, v37, v54
	v_fmac_f32_e32 v42, v28, v43
	v_mul_f32_e32 v48, v31, v48
	s_delay_alu instid0(VALU_DEP_3) | instskip(NEXT) | instid1(VALU_DEP_4)
	v_add_f32_e32 v6, v6, v26
	v_fmac_f32_e32 v9, v38, v53
	s_delay_alu instid0(VALU_DEP_3) | instskip(NEXT) | instid1(VALU_DEP_1)
	v_dual_add_f32 v7, v7, v42 :: v_dual_fmac_f32 v48, v32, v47
	v_dual_mul_f32 v26, v40, v56 :: v_dual_add_f32 v7, v7, v46
	v_mul_f32_e32 v58, v34, v50
	s_delay_alu instid0(VALU_DEP_2) | instskip(NEXT) | instid1(VALU_DEP_2)
	v_dual_mul_f32 v50, v33, v50 :: v_dual_add_f32 v7, v7, v48
	v_fma_f32 v27, v33, v49, -v58
	s_delay_alu instid0(VALU_DEP_1) | instskip(SKIP_1) | instid1(VALU_DEP_4)
	v_dual_add_f32 v6, v6, v27 :: v_dual_mul_f32 v27, v39, v56
	v_mul_f32_e32 v8, v35, v52
	v_fmac_f32_e32 v50, v34, v49
	s_delay_alu instid0(VALU_DEP_3) | instskip(NEXT) | instid1(VALU_DEP_2)
	v_dual_add_f32 v6, v6, v25 :: v_dual_fmac_f32 v27, v40, v55
	v_dual_fmac_f32 v8, v36, v51 :: v_dual_add_f32 v7, v7, v50
	s_delay_alu instid0(VALU_DEP_1) | instskip(SKIP_1) | instid1(VALU_DEP_2)
	v_dual_add_f32 v7, v7, v8 :: v_dual_mul_f32 v10, v38, v54
	v_fma_f32 v8, v39, v55, -v26
	v_add_f32_e32 v7, v7, v9
	s_delay_alu instid0(VALU_DEP_3) | instskip(NEXT) | instid1(VALU_DEP_1)
	v_fma_f32 v10, v37, v53, -v10
	v_dual_add_f32 v7, v7, v27 :: v_dual_add_f32 v6, v6, v10
	s_delay_alu instid0(VALU_DEP_1)
	v_add_f32_e32 v6, v6, v8
	s_cbranch_scc0 .LBB58_21
; %bb.22:                               ;   in Loop: Header=BB58_7 Depth=2
	global_load_b64 v[8:9], v[3:4], off
	v_dual_mul_f32 v5, s12, v7 :: v_dual_mul_f32 v10, s12, v6
	s_delay_alu instid0(VALU_DEP_1) | instskip(SKIP_1) | instid1(VALU_DEP_1)
	v_fma_f32 v5, s7, v6, -v5
	s_waitcnt vmcnt(0)
	v_dual_fmac_f32 v10, s7, v7 :: v_dual_add_f32 v5, v5, v8
	s_delay_alu instid0(VALU_DEP_1)
	v_add_f32_e32 v6, v10, v9
	global_store_b64 v[3:4], v[5:6], off
	s_branch .LBB58_6
.LBB58_23:
	s_endpgm
	.section	.rodata,"a",@progbits
	.p2align	6, 0x0
	.amdhsa_kernel _ZL24rocblas_symm_hemm_kernelILb1ELb0ELi32E19rocblas_complex_numIfEPKPKS1_PKPS1_EvbiiT2_T3_lllSA_lllT4_llli
		.amdhsa_group_segment_fixed_size 16384
		.amdhsa_private_segment_fixed_size 0
		.amdhsa_kernarg_size 384
		.amdhsa_user_sgpr_count 13
		.amdhsa_user_sgpr_dispatch_ptr 0
		.amdhsa_user_sgpr_queue_ptr 0
		.amdhsa_user_sgpr_kernarg_segment_ptr 1
		.amdhsa_user_sgpr_dispatch_id 0
		.amdhsa_user_sgpr_private_segment_size 0
		.amdhsa_wavefront_size32 1
		.amdhsa_uses_dynamic_stack 0
		.amdhsa_enable_private_segment 0
		.amdhsa_system_sgpr_workgroup_id_x 1
		.amdhsa_system_sgpr_workgroup_id_y 1
		.amdhsa_system_sgpr_workgroup_id_z 1
		.amdhsa_system_sgpr_workgroup_info 0
		.amdhsa_system_vgpr_workitem_id 1
		.amdhsa_next_free_vgpr 59
		.amdhsa_next_free_sgpr 28
		.amdhsa_reserve_vcc 1
		.amdhsa_float_round_mode_32 0
		.amdhsa_float_round_mode_16_64 0
		.amdhsa_float_denorm_mode_32 3
		.amdhsa_float_denorm_mode_16_64 3
		.amdhsa_dx10_clamp 1
		.amdhsa_ieee_mode 1
		.amdhsa_fp16_overflow 0
		.amdhsa_workgroup_processor_mode 1
		.amdhsa_memory_ordered 1
		.amdhsa_forward_progress 0
		.amdhsa_shared_vgpr_count 0
		.amdhsa_exception_fp_ieee_invalid_op 0
		.amdhsa_exception_fp_denorm_src 0
		.amdhsa_exception_fp_ieee_div_zero 0
		.amdhsa_exception_fp_ieee_overflow 0
		.amdhsa_exception_fp_ieee_underflow 0
		.amdhsa_exception_fp_ieee_inexact 0
		.amdhsa_exception_int_div_zero 0
	.end_amdhsa_kernel
	.section	.text._ZL24rocblas_symm_hemm_kernelILb1ELb0ELi32E19rocblas_complex_numIfEPKPKS1_PKPS1_EvbiiT2_T3_lllSA_lllT4_llli,"axG",@progbits,_ZL24rocblas_symm_hemm_kernelILb1ELb0ELi32E19rocblas_complex_numIfEPKPKS1_PKPS1_EvbiiT2_T3_lllSA_lllT4_llli,comdat
.Lfunc_end58:
	.size	_ZL24rocblas_symm_hemm_kernelILb1ELb0ELi32E19rocblas_complex_numIfEPKPKS1_PKPS1_EvbiiT2_T3_lllSA_lllT4_llli, .Lfunc_end58-_ZL24rocblas_symm_hemm_kernelILb1ELb0ELi32E19rocblas_complex_numIfEPKPKS1_PKPS1_EvbiiT2_T3_lllSA_lllT4_llli
                                        ; -- End function
	.section	.AMDGPU.csdata,"",@progbits
; Kernel info:
; codeLenInByte = 1584
; NumSgprs: 30
; NumVgprs: 59
; ScratchSize: 0
; MemoryBound: 0
; FloatMode: 240
; IeeeMode: 1
; LDSByteSize: 16384 bytes/workgroup (compile time only)
; SGPRBlocks: 3
; VGPRBlocks: 7
; NumSGPRsForWavesPerEU: 30
; NumVGPRsForWavesPerEU: 59
; Occupancy: 16
; WaveLimiterHint : 1
; COMPUTE_PGM_RSRC2:SCRATCH_EN: 0
; COMPUTE_PGM_RSRC2:USER_SGPR: 13
; COMPUTE_PGM_RSRC2:TRAP_HANDLER: 0
; COMPUTE_PGM_RSRC2:TGID_X_EN: 1
; COMPUTE_PGM_RSRC2:TGID_Y_EN: 1
; COMPUTE_PGM_RSRC2:TGID_Z_EN: 1
; COMPUTE_PGM_RSRC2:TIDIG_COMP_CNT: 1
	.section	.text._ZL24rocblas_symm_hemm_kernelILb1ELb1ELi32E19rocblas_complex_numIfEPKPKS1_PKPS1_EvbiiT2_T3_lllSA_lllT4_llli,"axG",@progbits,_ZL24rocblas_symm_hemm_kernelILb1ELb1ELi32E19rocblas_complex_numIfEPKPKS1_PKPS1_EvbiiT2_T3_lllSA_lllT4_llli,comdat
	.globl	_ZL24rocblas_symm_hemm_kernelILb1ELb1ELi32E19rocblas_complex_numIfEPKPKS1_PKPS1_EvbiiT2_T3_lllSA_lllT4_llli ; -- Begin function _ZL24rocblas_symm_hemm_kernelILb1ELb1ELi32E19rocblas_complex_numIfEPKPKS1_PKPS1_EvbiiT2_T3_lllSA_lllT4_llli
	.p2align	8
	.type	_ZL24rocblas_symm_hemm_kernelILb1ELb1ELi32E19rocblas_complex_numIfEPKPKS1_PKPS1_EvbiiT2_T3_lllSA_lllT4_llli,@function
_ZL24rocblas_symm_hemm_kernelILb1ELb1ELi32E19rocblas_complex_numIfEPKPKS1_PKPS1_EvbiiT2_T3_lllSA_lllT4_llli: ; @_ZL24rocblas_symm_hemm_kernelILb1ELb1ELi32E19rocblas_complex_numIfEPKPKS1_PKPS1_EvbiiT2_T3_lllSA_lllT4_llli
; %bb.0:
	s_clause 0x1
	s_load_b128 s[4:7], s[0:1], 0x0
	s_load_b32 s12, s[0:1], 0x10
	s_waitcnt lgkmcnt(0)
	v_cmp_eq_f32_e64 s3, s7, 0
	v_cmp_eq_f32_e64 s8, s12, 0
	s_delay_alu instid0(VALU_DEP_1) | instskip(NEXT) | instid1(SALU_CYCLE_1)
	s_and_b32 s3, s3, s8
	s_and_b32 vcc_lo, exec_lo, s3
	s_cbranch_vccnz .LBB59_23
; %bb.1:
	s_add_i32 s3, s6, -1
	s_mov_b32 s2, s15
	s_ashr_i32 s8, s3, 31
	s_delay_alu instid0(SALU_CYCLE_1) | instskip(NEXT) | instid1(SALU_CYCLE_1)
	s_lshr_b32 s8, s8, 27
	s_add_i32 s3, s3, s8
	s_delay_alu instid0(SALU_CYCLE_1) | instskip(NEXT) | instid1(SALU_CYCLE_1)
	s_ashr_i32 s15, s3, 5
	s_cmp_gt_i32 s14, s15
	s_cbranch_scc1 .LBB59_23
; %bb.2:
	s_clause 0x1
	s_load_b128 s[24:27], s[0:1], 0x18
	s_load_b64 s[20:21], s[0:1], 0x28
	s_mov_b32 s3, 0
	v_and_b32_e32 v10, 0x3ff, v0
	s_lshl_b64 s[28:29], s[2:3], 3
	v_bfe_u32 v11, v0, 10, 10
	s_load_b64 s[22:23], s[0:1], 0x48
	s_delay_alu instid0(VALU_DEP_2) | instskip(SKIP_1) | instid1(VALU_DEP_3)
	v_lshl_add_u32 v0, s13, 5, v10
	v_lshlrev_b32_e32 v12, 8, v10
	v_lshlrev_b32_e32 v2, 3, v11
	s_delay_alu instid0(VALU_DEP_3) | instskip(NEXT) | instid1(VALU_DEP_2)
	v_ashrrev_i32_e32 v1, 31, v0
	v_or_b32_e32 v14, 0x2000, v2
	s_delay_alu instid0(VALU_DEP_4) | instskip(NEXT) | instid1(VALU_DEP_2)
	v_add_nc_u32_e32 v13, v12, v2
	v_add_nc_u32_e32 v15, v14, v12
	s_waitcnt lgkmcnt(0)
	s_add_u32 s2, s24, s28
	s_addc_u32 s3, s25, s29
	s_load_b64 s[24:25], s[2:3], 0x0
	s_clause 0x1
	s_load_b128 s[8:11], s[0:1], 0x38
	s_load_b128 s[16:19], s[0:1], 0x58
	s_lshl_b64 s[26:27], s[26:27], 3
	s_waitcnt lgkmcnt(0)
	s_add_u32 s3, s24, s26
	s_addc_u32 s24, s25, s27
	s_add_u32 s8, s8, s28
	s_addc_u32 s9, s9, s29
	;; [unrolled: 2-line block ×3, first 2 shown]
	s_load_b64 s[26:27], s[8:9], 0x0
	s_load_b64 s[16:17], s[16:17], 0x0
	s_clause 0x1
	s_load_b64 s[8:9], s[0:1], 0x68
	s_load_b32 s13, s[0:1], 0x84
	v_cmp_gt_i32_e64 s0, s5, v0
	s_bitcmp1_b32 s4, 0
	v_lshlrev_b64 v[0:1], 3, v[0:1]
	s_cselect_b32 s1, -1, 0
	s_lshl_b64 s[4:5], s[18:19], 3
	s_waitcnt lgkmcnt(0)
	s_add_u32 s2, s16, s4
	s_addc_u32 s16, s17, s5
	s_lshl_b64 s[4:5], s[10:11], 3
	v_add_co_u32 v16, vcc_lo, s2, v0
	s_add_u32 s4, s26, s4
	v_add_co_ci_u32_e32 v17, vcc_lo, s16, v1, vcc_lo
	s_addc_u32 s2, s27, s5
	v_add_co_u32 v18, vcc_lo, s4, v0
	v_add_co_ci_u32_e32 v19, vcc_lo, s2, v1, vcc_lo
	s_cmp_gt_i32 s6, 0
	s_cselect_b32 s4, -1, 0
	s_branch .LBB59_4
.LBB59_3:                               ;   in Loop: Header=BB59_4 Depth=1
	s_add_i32 s14, s14, s13
	s_delay_alu instid0(SALU_CYCLE_1)
	s_cmp_gt_i32 s14, s15
	s_cbranch_scc1 .LBB59_23
.LBB59_4:                               ; =>This Loop Header: Depth=1
                                        ;     Child Loop BB59_7 Depth 2
                                        ;       Child Loop BB59_21 Depth 3
	s_and_not1_b32 vcc_lo, exec_lo, s4
	s_cbranch_vccnz .LBB59_3
; %bb.5:                                ;   in Loop: Header=BB59_4 Depth=1
	v_lshl_add_u32 v0, s14, 5, v11
	s_mov_b32 s10, 0
	s_delay_alu instid0(VALU_DEP_1) | instskip(SKIP_3) | instid1(VALU_DEP_4)
	v_ashrrev_i32_e32 v1, 31, v0
	v_mul_lo_u32 v6, v0, s21
	v_mad_u64_u32 v[2:3], null, v0, s20, 0
	v_mul_lo_u32 v8, v0, s9
	v_mul_lo_u32 v7, v1, s20
	v_mad_u64_u32 v[4:5], null, v0, s8, 0
	v_mul_lo_u32 v9, v1, s8
	v_cmp_gt_i32_e32 vcc_lo, s6, v0
	s_delay_alu instid0(VALU_DEP_4) | instskip(SKIP_2) | instid1(VALU_DEP_4)
	v_add3_u32 v3, v3, v6, v7
	v_lshlrev_b64 v[6:7], 3, v[0:1]
	s_and_b32 s5, s0, vcc_lo
	v_add3_u32 v5, v5, v8, v9
	s_delay_alu instid0(VALU_DEP_3) | instskip(NEXT) | instid1(VALU_DEP_3)
	v_lshlrev_b64 v[1:2], 3, v[2:3]
	v_add_co_u32 v20, s2, s3, v6
	s_delay_alu instid0(VALU_DEP_3) | instskip(SKIP_1) | instid1(VALU_DEP_4)
	v_lshlrev_b64 v[3:4], 3, v[4:5]
	v_add_co_ci_u32_e64 v21, s2, s24, v7, s2
	v_add_co_u32 v22, s2, s3, v1
	s_delay_alu instid0(VALU_DEP_1) | instskip(NEXT) | instid1(VALU_DEP_4)
	v_add_co_ci_u32_e64 v23, s2, s24, v2, s2
	v_add_co_u32 v1, s2, v16, v3
	s_delay_alu instid0(VALU_DEP_1) | instskip(NEXT) | instid1(VALU_DEP_4)
	v_add_co_ci_u32_e64 v2, s2, v17, v4, s2
	v_add_co_u32 v3, s2, v22, v6
	s_delay_alu instid0(VALU_DEP_1)
	v_add_co_ci_u32_e64 v4, s2, v23, v7, s2
	s_branch .LBB59_7
.LBB59_6:                               ;   in Loop: Header=BB59_7 Depth=2
	s_or_b32 exec_lo, exec_lo, s2
	s_add_i32 s10, s10, 32
	s_waitcnt_vscnt null, 0x0
	s_cmp_ge_i32 s10, s6
	s_barrier
	buffer_gl0_inv
	s_cbranch_scc1 .LBB59_3
.LBB59_7:                               ;   Parent Loop BB59_4 Depth=1
                                        ; =>  This Loop Header: Depth=2
                                        ;       Child Loop BB59_21 Depth 3
	v_dual_mov_b32 v5, 0 :: v_dual_add_nc_u32 v6, s10, v11
	v_dual_mov_b32 v8, 0 :: v_dual_mov_b32 v9, 0
	s_delay_alu instid0(VALU_DEP_2) | instskip(SKIP_1) | instid1(SALU_CYCLE_1)
	v_cmp_gt_i32_e32 vcc_lo, s6, v6
	s_and_b32 s11, s0, vcc_lo
	s_and_saveexec_b32 s2, s11
	s_cbranch_execz .LBB59_9
; %bb.8:                                ;   in Loop: Header=BB59_7 Depth=2
	v_ashrrev_i32_e32 v9, 31, v6
	v_mul_lo_u32 v24, v6, s23
	v_mad_u64_u32 v[7:8], null, v6, s22, 0
	s_delay_alu instid0(VALU_DEP_3) | instskip(NEXT) | instid1(VALU_DEP_1)
	v_mul_lo_u32 v6, v9, s22
	v_add3_u32 v8, v8, v24, v6
	s_delay_alu instid0(VALU_DEP_1) | instskip(NEXT) | instid1(VALU_DEP_1)
	v_lshlrev_b64 v[6:7], 3, v[7:8]
	v_add_co_u32 v6, vcc_lo, v18, v6
	s_delay_alu instid0(VALU_DEP_2)
	v_add_co_ci_u32_e32 v7, vcc_lo, v19, v7, vcc_lo
	global_load_b64 v[8:9], v[6:7], off
.LBB59_9:                               ;   in Loop: Header=BB59_7 Depth=2
	s_or_b32 exec_lo, exec_lo, s2
	v_add_nc_u32_e32 v7, s10, v10
	s_mov_b32 s11, exec_lo
	s_waitcnt vmcnt(0)
	ds_store_b64 v13, v[8:9]
	v_cndmask_b32_e64 v6, v0, v7, s1
	v_cndmask_b32_e64 v24, v7, v0, s1
	s_delay_alu instid0(VALU_DEP_1) | instskip(SKIP_3) | instid1(VALU_DEP_3)
	v_cmp_gt_i32_e32 vcc_lo, v6, v24
	v_dual_cndmask_b32 v25, v7, v0 :: v_dual_cndmask_b32 v26, v0, v7
	v_cmp_le_i32_e32 vcc_lo, v6, v24
	v_mov_b32_e32 v6, 0
	v_max_i32_e32 v25, v25, v26
	s_delay_alu instid0(VALU_DEP_1)
	v_cmpx_gt_i32_e64 s6, v25
	s_cbranch_execz .LBB59_19
; %bb.10:                               ;   in Loop: Header=BB59_7 Depth=2
                                        ; implicit-def: $vgpr6
	s_and_saveexec_b32 s2, vcc_lo
	s_delay_alu instid0(SALU_CYCLE_1)
	s_xor_b32 s2, exec_lo, s2
	s_cbranch_execz .LBB59_16
; %bb.11:                               ;   in Loop: Header=BB59_7 Depth=2
	s_mov_b32 s16, exec_lo
                                        ; implicit-def: $vgpr6
	v_cmpx_ne_u32_e64 v7, v0
	s_xor_b32 s16, exec_lo, s16
	s_cbranch_execz .LBB59_13
; %bb.12:                               ;   in Loop: Header=BB59_7 Depth=2
	v_ashrrev_i32_e32 v8, 31, v7
	s_delay_alu instid0(VALU_DEP_1) | instskip(NEXT) | instid1(VALU_DEP_1)
	v_lshlrev_b64 v[5:6], 3, v[7:8]
	v_add_co_u32 v5, vcc_lo, v22, v5
	s_delay_alu instid0(VALU_DEP_2)
	v_add_co_ci_u32_e32 v6, vcc_lo, v23, v6, vcc_lo
	global_load_b64 v[5:6], v[5:6], off
.LBB59_13:                              ;   in Loop: Header=BB59_7 Depth=2
	s_and_not1_saveexec_b32 s16, s16
	s_cbranch_execz .LBB59_15
; %bb.14:                               ;   in Loop: Header=BB59_7 Depth=2
	global_load_b32 v5, v[3:4], off
	s_waitcnt vmcnt(1)
	v_mov_b32_e32 v6, 0
.LBB59_15:                              ;   in Loop: Header=BB59_7 Depth=2
	s_or_b32 exec_lo, exec_lo, s16
                                        ; implicit-def: $vgpr7
.LBB59_16:                              ;   in Loop: Header=BB59_7 Depth=2
	s_and_not1_saveexec_b32 s2, s2
	s_cbranch_execz .LBB59_18
; %bb.17:                               ;   in Loop: Header=BB59_7 Depth=2
	v_ashrrev_i32_e32 v8, 31, v7
	v_mul_lo_u32 v9, v7, s21
	s_waitcnt vmcnt(0)
	v_mad_u64_u32 v[5:6], null, v7, s20, 0
	s_delay_alu instid0(VALU_DEP_3) | instskip(NEXT) | instid1(VALU_DEP_1)
	v_mul_lo_u32 v7, v8, s20
	v_add3_u32 v6, v6, v9, v7
	s_delay_alu instid0(VALU_DEP_1) | instskip(NEXT) | instid1(VALU_DEP_1)
	v_lshlrev_b64 v[5:6], 3, v[5:6]
	v_add_co_u32 v5, vcc_lo, v20, v5
	s_delay_alu instid0(VALU_DEP_2)
	v_add_co_ci_u32_e32 v6, vcc_lo, v21, v6, vcc_lo
	global_load_b64 v[5:6], v[5:6], off
	s_waitcnt vmcnt(0)
	v_xor_b32_e32 v6, 0x80000000, v6
.LBB59_18:                              ;   in Loop: Header=BB59_7 Depth=2
	s_or_b32 exec_lo, exec_lo, s2
.LBB59_19:                              ;   in Loop: Header=BB59_7 Depth=2
	s_delay_alu instid0(SALU_CYCLE_1)
	s_or_b32 exec_lo, exec_lo, s11
	s_waitcnt vmcnt(0)
	ds_store_b64 v15, v[5:6]
	s_waitcnt lgkmcnt(0)
	s_barrier
	buffer_gl0_inv
	s_and_saveexec_b32 s2, s5
	s_cbranch_execz .LBB59_6
; %bb.20:                               ;   in Loop: Header=BB59_7 Depth=2
	v_dual_mov_b32 v6, 0 :: v_dual_mov_b32 v5, v14
	v_mov_b32_e32 v7, 0
	s_mov_b32 s11, 0
.LBB59_21:                              ;   Parent Loop BB59_4 Depth=1
                                        ;     Parent Loop BB59_7 Depth=2
                                        ; =>    This Inner Loop Header: Depth=3
	s_delay_alu instid0(SALU_CYCLE_1)
	v_add_nc_u32_e32 v8, s11, v12
	ds_load_2addr_b64 v[24:27], v5 offset1:32
	ds_load_2addr_b64 v[28:31], v5 offset0:64 offset1:96
	ds_load_2addr_b64 v[32:35], v5 offset0:128 offset1:160
	;; [unrolled: 1-line block ×3, first 2 shown]
	ds_load_b128 v[40:43], v8
	ds_load_b128 v[44:47], v8 offset:16
	ds_load_b128 v[48:51], v8 offset:32
	;; [unrolled: 1-line block ×3, first 2 shown]
	v_add_nc_u32_e32 v5, 0x800, v5
	s_add_i32 s11, s11, 64
	s_delay_alu instid0(SALU_CYCLE_1)
	s_cmpk_eq_i32 s11, 0x100
	s_waitcnt lgkmcnt(3)
	v_mul_f32_e32 v9, v24, v41
	v_dual_mul_f32 v8, v25, v41 :: v_dual_mul_f32 v41, v27, v43
	s_waitcnt lgkmcnt(2)
	v_dual_mul_f32 v43, v26, v43 :: v_dual_mul_f32 v56, v29, v45
	s_waitcnt lgkmcnt(1)
	v_dual_mul_f32 v57, v31, v47 :: v_dual_mul_f32 v58, v33, v49
	v_fma_f32 v8, v24, v40, -v8
	v_mul_f32_e32 v49, v32, v49
	v_fmac_f32_e32 v9, v25, v40
	v_fma_f32 v25, v26, v42, -v41
	v_dual_mul_f32 v45, v28, v45 :: v_dual_mul_f32 v24, v35, v51
	v_dual_add_f32 v6, v6, v8 :: v_dual_fmac_f32 v43, v27, v42
	v_mul_f32_e32 v8, v34, v51
	v_fma_f32 v26, v30, v46, -v57
	v_add_f32_e32 v7, v7, v9
	v_fma_f32 v9, v28, v44, -v56
	v_dual_add_f32 v6, v6, v25 :: v_dual_fmac_f32 v45, v29, v44
	v_dual_mul_f32 v47, v30, v47 :: v_dual_fmac_f32 v8, v35, v50
	v_fma_f32 v27, v32, v48, -v58
	s_delay_alu instid0(VALU_DEP_3) | instskip(SKIP_3) | instid1(VALU_DEP_3)
	v_add_f32_e32 v6, v6, v9
	s_waitcnt lgkmcnt(0)
	v_mul_f32_e32 v25, v37, v53
	v_fma_f32 v24, v34, v50, -v24
	v_dual_mul_f32 v9, v36, v53 :: v_dual_add_f32 v6, v6, v26
	v_mul_f32_e32 v26, v39, v55
	v_fmac_f32_e32 v47, v31, v46
	v_fma_f32 v25, v36, v52, -v25
	s_delay_alu instid0(VALU_DEP_4) | instskip(SKIP_2) | instid1(VALU_DEP_3)
	v_dual_fmac_f32 v9, v37, v52 :: v_dual_add_f32 v6, v6, v27
	v_add_f32_e32 v7, v7, v43
	v_mul_f32_e32 v27, v38, v55
	v_add_f32_e32 v6, v6, v24
	v_fmac_f32_e32 v49, v33, v48
	s_delay_alu instid0(VALU_DEP_2) | instskip(SKIP_1) | instid1(VALU_DEP_1)
	v_dual_fmac_f32 v27, v39, v54 :: v_dual_add_f32 v6, v6, v25
	v_add_f32_e32 v7, v7, v45
	v_add_f32_e32 v7, v7, v47
	s_delay_alu instid0(VALU_DEP_1) | instskip(NEXT) | instid1(VALU_DEP_1)
	v_add_f32_e32 v7, v7, v49
	v_add_f32_e32 v7, v7, v8
	v_fma_f32 v8, v38, v54, -v26
	s_delay_alu instid0(VALU_DEP_1) | instskip(NEXT) | instid1(VALU_DEP_1)
	v_dual_add_f32 v7, v7, v9 :: v_dual_add_f32 v6, v6, v8
	v_add_f32_e32 v7, v7, v27
	s_cbranch_scc0 .LBB59_21
; %bb.22:                               ;   in Loop: Header=BB59_7 Depth=2
	global_load_b64 v[8:9], v[1:2], off
	v_dual_mul_f32 v5, s12, v7 :: v_dual_mul_f32 v24, s12, v6
	s_delay_alu instid0(VALU_DEP_1) | instskip(SKIP_1) | instid1(VALU_DEP_1)
	v_fma_f32 v5, s7, v6, -v5
	s_waitcnt vmcnt(0)
	v_dual_fmac_f32 v24, s7, v7 :: v_dual_add_f32 v5, v5, v8
	s_delay_alu instid0(VALU_DEP_1)
	v_add_f32_e32 v6, v24, v9
	global_store_b64 v[1:2], v[5:6], off
	s_branch .LBB59_6
.LBB59_23:
	s_endpgm
	.section	.rodata,"a",@progbits
	.p2align	6, 0x0
	.amdhsa_kernel _ZL24rocblas_symm_hemm_kernelILb1ELb1ELi32E19rocblas_complex_numIfEPKPKS1_PKPS1_EvbiiT2_T3_lllSA_lllT4_llli
		.amdhsa_group_segment_fixed_size 16384
		.amdhsa_private_segment_fixed_size 0
		.amdhsa_kernarg_size 384
		.amdhsa_user_sgpr_count 13
		.amdhsa_user_sgpr_dispatch_ptr 0
		.amdhsa_user_sgpr_queue_ptr 0
		.amdhsa_user_sgpr_kernarg_segment_ptr 1
		.amdhsa_user_sgpr_dispatch_id 0
		.amdhsa_user_sgpr_private_segment_size 0
		.amdhsa_wavefront_size32 1
		.amdhsa_uses_dynamic_stack 0
		.amdhsa_enable_private_segment 0
		.amdhsa_system_sgpr_workgroup_id_x 1
		.amdhsa_system_sgpr_workgroup_id_y 1
		.amdhsa_system_sgpr_workgroup_id_z 1
		.amdhsa_system_sgpr_workgroup_info 0
		.amdhsa_system_vgpr_workitem_id 1
		.amdhsa_next_free_vgpr 59
		.amdhsa_next_free_sgpr 30
		.amdhsa_reserve_vcc 1
		.amdhsa_float_round_mode_32 0
		.amdhsa_float_round_mode_16_64 0
		.amdhsa_float_denorm_mode_32 3
		.amdhsa_float_denorm_mode_16_64 3
		.amdhsa_dx10_clamp 1
		.amdhsa_ieee_mode 1
		.amdhsa_fp16_overflow 0
		.amdhsa_workgroup_processor_mode 1
		.amdhsa_memory_ordered 1
		.amdhsa_forward_progress 0
		.amdhsa_shared_vgpr_count 0
		.amdhsa_exception_fp_ieee_invalid_op 0
		.amdhsa_exception_fp_denorm_src 0
		.amdhsa_exception_fp_ieee_div_zero 0
		.amdhsa_exception_fp_ieee_overflow 0
		.amdhsa_exception_fp_ieee_underflow 0
		.amdhsa_exception_fp_ieee_inexact 0
		.amdhsa_exception_int_div_zero 0
	.end_amdhsa_kernel
	.section	.text._ZL24rocblas_symm_hemm_kernelILb1ELb1ELi32E19rocblas_complex_numIfEPKPKS1_PKPS1_EvbiiT2_T3_lllSA_lllT4_llli,"axG",@progbits,_ZL24rocblas_symm_hemm_kernelILb1ELb1ELi32E19rocblas_complex_numIfEPKPKS1_PKPS1_EvbiiT2_T3_lllSA_lllT4_llli,comdat
.Lfunc_end59:
	.size	_ZL24rocblas_symm_hemm_kernelILb1ELb1ELi32E19rocblas_complex_numIfEPKPKS1_PKPS1_EvbiiT2_T3_lllSA_lllT4_llli, .Lfunc_end59-_ZL24rocblas_symm_hemm_kernelILb1ELb1ELi32E19rocblas_complex_numIfEPKPKS1_PKPS1_EvbiiT2_T3_lllSA_lllT4_llli
                                        ; -- End function
	.section	.AMDGPU.csdata,"",@progbits
; Kernel info:
; codeLenInByte = 1540
; NumSgprs: 32
; NumVgprs: 59
; ScratchSize: 0
; MemoryBound: 0
; FloatMode: 240
; IeeeMode: 1
; LDSByteSize: 16384 bytes/workgroup (compile time only)
; SGPRBlocks: 3
; VGPRBlocks: 7
; NumSGPRsForWavesPerEU: 32
; NumVGPRsForWavesPerEU: 59
; Occupancy: 16
; WaveLimiterHint : 1
; COMPUTE_PGM_RSRC2:SCRATCH_EN: 0
; COMPUTE_PGM_RSRC2:USER_SGPR: 13
; COMPUTE_PGM_RSRC2:TRAP_HANDLER: 0
; COMPUTE_PGM_RSRC2:TGID_X_EN: 1
; COMPUTE_PGM_RSRC2:TGID_Y_EN: 1
; COMPUTE_PGM_RSRC2:TGID_Z_EN: 1
; COMPUTE_PGM_RSRC2:TIDIG_COMP_CNT: 1
	.section	.text._ZL24rocblas_symm_hemm_kernelILb1ELb0ELi32EPK19rocblas_complex_numIdEPKS3_PKPS1_EvbiiT2_T3_lllSA_lllT4_llli,"axG",@progbits,_ZL24rocblas_symm_hemm_kernelILb1ELb0ELi32EPK19rocblas_complex_numIdEPKS3_PKPS1_EvbiiT2_T3_lllSA_lllT4_llli,comdat
	.globl	_ZL24rocblas_symm_hemm_kernelILb1ELb0ELi32EPK19rocblas_complex_numIdEPKS3_PKPS1_EvbiiT2_T3_lllSA_lllT4_llli ; -- Begin function _ZL24rocblas_symm_hemm_kernelILb1ELb0ELi32EPK19rocblas_complex_numIdEPKS3_PKPS1_EvbiiT2_T3_lllSA_lllT4_llli
	.p2align	8
	.type	_ZL24rocblas_symm_hemm_kernelILb1ELb0ELi32EPK19rocblas_complex_numIdEPKS3_PKPS1_EvbiiT2_T3_lllSA_lllT4_llli,@function
_ZL24rocblas_symm_hemm_kernelILb1ELb0ELi32EPK19rocblas_complex_numIdEPKS3_PKPS1_EvbiiT2_T3_lllSA_lllT4_llli: ; @_ZL24rocblas_symm_hemm_kernelILb1ELb0ELi32EPK19rocblas_complex_numIdEPKS3_PKPS1_EvbiiT2_T3_lllSA_lllT4_llli
; %bb.0:
	s_load_b256 s[4:11], s[0:1], 0x10
	s_waitcnt lgkmcnt(0)
	s_load_b128 s[16:19], s[4:5], 0x0
	s_waitcnt lgkmcnt(0)
	v_cmp_eq_f64_e64 s3, s[16:17], 0
	v_cmp_eq_f64_e64 s4, s[18:19], 0
	s_delay_alu instid0(VALU_DEP_1) | instskip(NEXT) | instid1(SALU_CYCLE_1)
	s_and_b32 s3, s3, s4
	s_and_b32 vcc_lo, exec_lo, s3
	s_cbranch_vccnz .LBB60_23
; %bb.1:
	s_load_b128 s[20:23], s[0:1], 0x0
	s_waitcnt lgkmcnt(0)
	s_add_i32 s3, s22, -1
	s_delay_alu instid0(SALU_CYCLE_1) | instskip(NEXT) | instid1(SALU_CYCLE_1)
	s_ashr_i32 s4, s3, 31
	s_lshr_b32 s4, s4, 27
	s_delay_alu instid0(SALU_CYCLE_1) | instskip(NEXT) | instid1(SALU_CYCLE_1)
	s_add_i32 s3, s3, s4
	s_ashr_i32 s12, s3, 5
	s_delay_alu instid0(SALU_CYCLE_1)
	s_cmp_gt_i32 s14, s12
	s_cbranch_scc1 .LBB60_23
; %bb.2:
	s_clause 0x1
	s_load_b128 s[24:27], s[0:1], 0x38
	s_load_b64 s[28:29], s[0:1], 0x48
	s_mov_b32 s2, s15
	s_mov_b32 s3, 0
	v_and_b32_e32 v15, 0x3ff, v0
	s_lshl_b64 s[2:3], s[2:3], 3
	v_bfe_u32 v16, v0, 10, 10
	s_add_u32 s30, s6, s2
	s_addc_u32 s31, s7, s3
	v_lshl_add_u32 v8, s13, 5, v15
	v_lshlrev_b32_e32 v17, 9, v15
	v_lshlrev_b32_e32 v2, 4, v16
	s_delay_alu instid0(VALU_DEP_3) | instskip(SKIP_2) | instid1(VALU_DEP_4)
	v_ashrrev_i32_e32 v9, 31, v8
	v_mul_lo_u32 v4, v8, s11
	v_mad_u64_u32 v[0:1], null, v8, s10, 0
	v_add_nc_u32_e32 v18, v17, v2
	s_delay_alu instid0(VALU_DEP_4)
	v_mul_lo_u32 v5, v9, s10
	s_waitcnt lgkmcnt(0)
	s_add_u32 s4, s24, s2
	s_addc_u32 s5, s25, s3
	s_lshl_b64 s[26:27], s[26:27], 4
	s_load_b64 s[34:35], s[4:5], 0x0
	s_load_b128 s[4:7], s[0:1], 0x58
	v_or_b32_e32 v19, 0x4000, v2
	v_lshlrev_b64 v[2:3], 4, v[8:9]
	s_load_b64 s[24:25], s[0:1], 0x68
	v_add3_u32 v1, v1, v4, v5
	s_delay_alu instid0(VALU_DEP_3) | instskip(NEXT) | instid1(VALU_DEP_2)
	v_add_nc_u32_e32 v20, v19, v17
	v_lshlrev_b64 v[0:1], 4, v[0:1]
	s_waitcnt lgkmcnt(0)
	s_add_u32 s13, s34, s26
	s_addc_u32 s15, s35, s27
	s_add_u32 s2, s4, s2
	s_load_b32 s4, s[0:1], 0x84
	s_addc_u32 s3, s5, s3
	s_load_b64 s[26:27], s[30:31], 0x0
	s_load_b64 s[2:3], s[2:3], 0x0
	s_bitcmp1_b32 s20, 0
	v_cmp_gt_i32_e64 s0, s21, v8
	s_cselect_b32 s1, -1, 0
	s_lshl_b64 s[6:7], s[6:7], 4
	s_waitcnt lgkmcnt(0)
	s_add_u32 s5, s2, s6
	s_addc_u32 s6, s3, s7
	s_lshl_b64 s[2:3], s[8:9], 4
	v_add_co_u32 v21, vcc_lo, s5, v2
	s_add_u32 s2, s26, s2
	v_add_co_ci_u32_e32 v22, vcc_lo, s6, v3, vcc_lo
	s_addc_u32 s3, s27, s3
	v_add_co_u32 v23, vcc_lo, s2, v2
	v_add_co_ci_u32_e32 v24, vcc_lo, s3, v3, vcc_lo
	v_add_co_u32 v25, vcc_lo, s2, v0
	v_add_co_ci_u32_e32 v26, vcc_lo, s3, v1, vcc_lo
	s_delay_alu instid0(VALU_DEP_4) | instskip(NEXT) | instid1(VALU_DEP_4)
	v_add_co_u32 v9, vcc_lo, v23, v0
	v_add_co_ci_u32_e32 v10, vcc_lo, v24, v1, vcc_lo
	s_cmp_gt_i32 s21, 0
	s_cselect_b32 s5, -1, 0
	s_branch .LBB60_4
.LBB60_3:                               ;   in Loop: Header=BB60_4 Depth=1
	s_add_i32 s14, s14, s4
	s_delay_alu instid0(SALU_CYCLE_1)
	s_cmp_gt_i32 s14, s12
	s_cbranch_scc1 .LBB60_23
.LBB60_4:                               ; =>This Loop Header: Depth=1
                                        ;     Child Loop BB60_7 Depth 2
                                        ;       Child Loop BB60_21 Depth 3
	s_and_not1_b32 vcc_lo, exec_lo, s5
	s_cbranch_vccnz .LBB60_3
; %bb.5:                                ;   in Loop: Header=BB60_4 Depth=1
	v_lshl_add_u32 v4, s14, 5, v16
	s_mov_b32 s7, 0
	s_delay_alu instid0(VALU_DEP_1) | instskip(SKIP_3) | instid1(VALU_DEP_4)
	v_ashrrev_i32_e32 v5, 31, v4
	v_mul_lo_u32 v6, v4, s29
	v_mad_u64_u32 v[0:1], null, v4, s28, 0
	v_mul_lo_u32 v11, v4, s25
	v_mul_lo_u32 v7, v5, s28
	v_mad_u64_u32 v[2:3], null, v4, s24, 0
	v_mul_lo_u32 v5, v5, s24
	v_cmp_gt_i32_e32 vcc_lo, s22, v4
	s_delay_alu instid0(VALU_DEP_4) | instskip(SKIP_1) | instid1(VALU_DEP_3)
	v_add3_u32 v1, v1, v6, v7
	s_and_b32 s6, s0, vcc_lo
	v_add3_u32 v3, v3, v11, v5
	s_delay_alu instid0(VALU_DEP_2) | instskip(NEXT) | instid1(VALU_DEP_2)
	v_lshlrev_b64 v[0:1], 4, v[0:1]
	v_lshlrev_b64 v[2:3], 4, v[2:3]
	s_delay_alu instid0(VALU_DEP_2) | instskip(NEXT) | instid1(VALU_DEP_1)
	v_add_co_u32 v27, s2, s13, v0
	v_add_co_ci_u32_e64 v28, s2, s15, v1, s2
	s_delay_alu instid0(VALU_DEP_3) | instskip(NEXT) | instid1(VALU_DEP_1)
	v_add_co_u32 v11, s2, v21, v2
	v_add_co_ci_u32_e64 v12, s2, v22, v3, s2
	s_branch .LBB60_7
.LBB60_6:                               ;   in Loop: Header=BB60_7 Depth=2
	s_or_b32 exec_lo, exec_lo, s2
	s_add_i32 s7, s7, 32
	s_waitcnt_vscnt null, 0x0
	s_cmp_ge_i32 s7, s21
	s_barrier
	buffer_gl0_inv
	s_cbranch_scc1 .LBB60_3
.LBB60_7:                               ;   Parent Loop BB60_4 Depth=1
                                        ; =>  This Loop Header: Depth=2
                                        ;       Child Loop BB60_21 Depth 3
	v_add_nc_u32_e32 v2, s7, v16
	v_mov_b32_e32 v0, 0
	v_mov_b32_e32 v1, 0
	s_delay_alu instid0(VALU_DEP_3) | instskip(SKIP_1) | instid1(VALU_DEP_1)
	v_cndmask_b32_e64 v3, v2, v8, s1
	v_cndmask_b32_e64 v6, v8, v2, s1
	v_cmp_gt_i32_e64 s2, v3, v6
	s_delay_alu instid0(VALU_DEP_1) | instskip(SKIP_2) | instid1(VALU_DEP_2)
	v_cndmask_b32_e64 v4, v8, v2, s2
	v_cndmask_b32_e64 v5, v2, v8, s2
	v_cmp_le_i32_e64 s2, v3, v6
	v_max_i32_e32 v7, v4, v5
	v_dual_mov_b32 v5, v1 :: v_dual_mov_b32 v4, v0
	s_delay_alu instid0(VALU_DEP_2) | instskip(SKIP_1) | instid1(VALU_DEP_2)
	v_cmp_gt_i32_e64 s3, s21, v7
	v_dual_mov_b32 v7, v1 :: v_dual_mov_b32 v6, v0
	s_and_saveexec_b32 s8, s3
	s_cbranch_execz .LBB60_17
; %bb.8:                                ;   in Loop: Header=BB60_7 Depth=2
                                        ; implicit-def: $vgpr6_vgpr7
	s_and_saveexec_b32 s3, s2
	s_delay_alu instid0(SALU_CYCLE_1)
	s_xor_b32 s3, exec_lo, s3
	s_cbranch_execz .LBB60_14
; %bb.9:                                ;   in Loop: Header=BB60_7 Depth=2
	s_mov_b32 s9, exec_lo
                                        ; implicit-def: $vgpr6_vgpr7
	v_cmpx_ne_u32_e64 v8, v2
	s_xor_b32 s9, exec_lo, s9
	s_cbranch_execz .LBB60_11
; %bb.10:                               ;   in Loop: Header=BB60_7 Depth=2
	v_ashrrev_i32_e32 v5, 31, v2
	v_mul_lo_u32 v6, v2, s11
	v_mad_u64_u32 v[3:4], null, v2, s10, 0
	s_delay_alu instid0(VALU_DEP_3) | instskip(NEXT) | instid1(VALU_DEP_1)
	v_mul_lo_u32 v2, v5, s10
	v_add3_u32 v4, v4, v6, v2
	s_delay_alu instid0(VALU_DEP_1) | instskip(NEXT) | instid1(VALU_DEP_1)
	v_lshlrev_b64 v[2:3], 4, v[3:4]
	v_add_co_u32 v2, s2, v23, v2
	s_delay_alu instid0(VALU_DEP_1)
	v_add_co_ci_u32_e64 v3, s2, v24, v3, s2
	global_load_b128 v[4:7], v[2:3], off
.LBB60_11:                              ;   in Loop: Header=BB60_7 Depth=2
	s_and_not1_saveexec_b32 s2, s9
	s_cbranch_execz .LBB60_13
; %bb.12:                               ;   in Loop: Header=BB60_7 Depth=2
	global_load_b64 v[4:5], v[9:10], off
	s_waitcnt vmcnt(1)
	v_mov_b32_e32 v6, 0
	v_mov_b32_e32 v7, 0
.LBB60_13:                              ;   in Loop: Header=BB60_7 Depth=2
	s_or_b32 exec_lo, exec_lo, s2
                                        ; implicit-def: $vgpr2
.LBB60_14:                              ;   in Loop: Header=BB60_7 Depth=2
	s_and_not1_saveexec_b32 s3, s3
	s_cbranch_execz .LBB60_16
; %bb.15:                               ;   in Loop: Header=BB60_7 Depth=2
	v_ashrrev_i32_e32 v3, 31, v2
	s_delay_alu instid0(VALU_DEP_1) | instskip(NEXT) | instid1(VALU_DEP_1)
	v_lshlrev_b64 v[2:3], 4, v[2:3]
	v_add_co_u32 v2, s2, v25, v2
	s_delay_alu instid0(VALU_DEP_1)
	v_add_co_ci_u32_e64 v3, s2, v26, v3, s2
	global_load_b128 v[4:7], v[2:3], off
	s_waitcnt vmcnt(0)
	v_xor_b32_e32 v7, 0x80000000, v7
.LBB60_16:                              ;   in Loop: Header=BB60_7 Depth=2
	s_or_b32 exec_lo, exec_lo, s3
.LBB60_17:                              ;   in Loop: Header=BB60_7 Depth=2
	s_delay_alu instid0(SALU_CYCLE_1)
	s_or_b32 exec_lo, exec_lo, s8
	v_add_nc_u32_e32 v13, s7, v15
	v_dual_mov_b32 v3, v1 :: v_dual_mov_b32 v2, v0
	s_waitcnt vmcnt(0)
	ds_store_b128 v18, v[4:7]
	v_cmp_gt_i32_e64 s2, s21, v13
	s_delay_alu instid0(VALU_DEP_1) | instskip(NEXT) | instid1(SALU_CYCLE_1)
	s_and_b32 s2, s2, vcc_lo
	s_and_saveexec_b32 s3, s2
	s_cbranch_execz .LBB60_19
; %bb.18:                               ;   in Loop: Header=BB60_7 Depth=2
	v_ashrrev_i32_e32 v14, 31, v13
	s_delay_alu instid0(VALU_DEP_1) | instskip(NEXT) | instid1(VALU_DEP_1)
	v_lshlrev_b64 v[0:1], 4, v[13:14]
	v_add_co_u32 v0, s2, v27, v0
	s_delay_alu instid0(VALU_DEP_1)
	v_add_co_ci_u32_e64 v1, s2, v28, v1, s2
	global_load_b128 v[0:3], v[0:1], off
.LBB60_19:                              ;   in Loop: Header=BB60_7 Depth=2
	s_or_b32 exec_lo, exec_lo, s3
	s_waitcnt vmcnt(0)
	ds_store_b128 v20, v[0:3]
	s_waitcnt lgkmcnt(0)
	s_barrier
	buffer_gl0_inv
	s_and_saveexec_b32 s2, s6
	s_cbranch_execz .LBB60_6
; %bb.20:                               ;   in Loop: Header=BB60_7 Depth=2
	v_mov_b32_e32 v0, 0
	v_dual_mov_b32 v1, 0 :: v_dual_mov_b32 v4, v19
	s_mov_b32 s3, 0
	s_delay_alu instid0(VALU_DEP_1)
	v_dual_mov_b32 v3, v1 :: v_dual_mov_b32 v2, v0
.LBB60_21:                              ;   Parent Loop BB60_4 Depth=1
                                        ;     Parent Loop BB60_7 Depth=2
                                        ; =>    This Inner Loop Header: Depth=3
	v_add_nc_u32_e32 v7, s3, v17
	s_addk_i32 s3, 0x80
	ds_load_b128 v[29:32], v4
	ds_load_b128 v[33:36], v7
	ds_load_b128 v[37:40], v4 offset:512
	ds_load_b128 v[41:44], v7 offset:16
	s_cmpk_eq_i32 s3, 0x200
	s_waitcnt lgkmcnt(2)
	v_mul_f64 v[5:6], v[31:32], v[35:36]
	v_mul_f64 v[13:14], v[29:30], v[35:36]
	s_waitcnt lgkmcnt(0)
	v_mul_f64 v[51:52], v[39:40], v[43:44]
	v_mul_f64 v[53:54], v[37:38], v[43:44]
	s_delay_alu instid0(VALU_DEP_4) | instskip(NEXT) | instid1(VALU_DEP_4)
	v_fma_f64 v[5:6], v[29:30], v[33:34], -v[5:6]
	v_fma_f64 v[13:14], v[31:32], v[33:34], v[13:14]
	ds_load_b128 v[29:32], v4 offset:1024
	ds_load_b128 v[33:36], v7 offset:32
	;; [unrolled: 1-line block ×4, first 2 shown]
	v_fma_f64 v[37:38], v[37:38], v[41:42], -v[51:52]
	v_fma_f64 v[39:40], v[39:40], v[41:42], v[53:54]
	s_waitcnt lgkmcnt(2)
	v_mul_f64 v[55:56], v[31:32], v[35:36]
	v_mul_f64 v[35:36], v[29:30], v[35:36]
	v_add_f64 v[0:1], v[0:1], v[5:6]
	v_add_f64 v[2:3], v[2:3], v[13:14]
	s_waitcnt lgkmcnt(0)
	v_mul_f64 v[5:6], v[45:46], v[49:50]
	v_mul_f64 v[13:14], v[43:44], v[49:50]
	v_fma_f64 v[41:42], v[29:30], v[33:34], -v[55:56]
	v_fma_f64 v[49:50], v[31:32], v[33:34], v[35:36]
	v_add_f64 v[51:52], v[0:1], v[37:38]
	v_add_f64 v[53:54], v[2:3], v[39:40]
	ds_load_b128 v[0:3], v4 offset:2048
	ds_load_b128 v[29:32], v7 offset:64
	;; [unrolled: 1-line block ×4, first 2 shown]
	v_fma_f64 v[5:6], v[43:44], v[47:48], -v[5:6]
	v_fma_f64 v[13:14], v[45:46], v[47:48], v[13:14]
	s_waitcnt lgkmcnt(2)
	v_mul_f64 v[55:56], v[2:3], v[31:32]
	v_mul_f64 v[31:32], v[0:1], v[31:32]
	s_waitcnt lgkmcnt(0)
	v_mul_f64 v[47:48], v[35:36], v[39:40]
	v_add_f64 v[41:42], v[51:52], v[41:42]
	v_add_f64 v[43:44], v[53:54], v[49:50]
	v_mul_f64 v[49:50], v[33:34], v[39:40]
	v_fma_f64 v[51:52], v[0:1], v[29:30], -v[55:56]
	v_fma_f64 v[53:54], v[2:3], v[29:30], v[31:32]
	v_fma_f64 v[33:34], v[33:34], v[37:38], -v[47:48]
	v_add_f64 v[5:6], v[41:42], v[5:6]
	v_add_f64 v[13:14], v[43:44], v[13:14]
	ds_load_b128 v[0:3], v4 offset:3072
	ds_load_b128 v[29:32], v7 offset:96
	;; [unrolled: 1-line block ×4, first 2 shown]
	v_fma_f64 v[35:36], v[35:36], v[37:38], v[49:50]
	v_add_nc_u32_e32 v4, 0x1000, v4
	s_waitcnt lgkmcnt(2)
	v_mul_f64 v[55:56], v[2:3], v[31:32]
	v_mul_f64 v[31:32], v[0:1], v[31:32]
	s_waitcnt lgkmcnt(0)
	v_mul_f64 v[37:38], v[41:42], v[45:46]
	v_mul_f64 v[45:46], v[39:40], v[45:46]
	v_add_f64 v[5:6], v[5:6], v[51:52]
	v_add_f64 v[13:14], v[13:14], v[53:54]
	v_fma_f64 v[0:1], v[0:1], v[29:30], -v[55:56]
	v_fma_f64 v[2:3], v[2:3], v[29:30], v[31:32]
	v_fma_f64 v[29:30], v[39:40], v[43:44], -v[37:38]
	v_fma_f64 v[31:32], v[41:42], v[43:44], v[45:46]
	v_add_f64 v[5:6], v[5:6], v[33:34]
	v_add_f64 v[13:14], v[13:14], v[35:36]
	s_delay_alu instid0(VALU_DEP_2) | instskip(NEXT) | instid1(VALU_DEP_2)
	v_add_f64 v[0:1], v[5:6], v[0:1]
	v_add_f64 v[2:3], v[13:14], v[2:3]
	s_delay_alu instid0(VALU_DEP_2) | instskip(NEXT) | instid1(VALU_DEP_2)
	v_add_f64 v[0:1], v[0:1], v[29:30]
	v_add_f64 v[2:3], v[2:3], v[31:32]
	s_cbranch_scc0 .LBB60_21
; %bb.22:                               ;   in Loop: Header=BB60_7 Depth=2
	global_load_b128 v[4:7], v[11:12], off
	v_mul_f64 v[13:14], s[18:19], v[2:3]
	v_mul_f64 v[29:30], s[18:19], v[0:1]
	s_delay_alu instid0(VALU_DEP_2) | instskip(NEXT) | instid1(VALU_DEP_2)
	v_fma_f64 v[0:1], s[16:17], v[0:1], -v[13:14]
	v_fma_f64 v[2:3], s[16:17], v[2:3], v[29:30]
	s_waitcnt vmcnt(0)
	s_delay_alu instid0(VALU_DEP_2) | instskip(NEXT) | instid1(VALU_DEP_2)
	v_add_f64 v[0:1], v[0:1], v[4:5]
	v_add_f64 v[2:3], v[2:3], v[6:7]
	global_store_b128 v[11:12], v[0:3], off
	s_branch .LBB60_6
.LBB60_23:
	s_endpgm
	.section	.rodata,"a",@progbits
	.p2align	6, 0x0
	.amdhsa_kernel _ZL24rocblas_symm_hemm_kernelILb1ELb0ELi32EPK19rocblas_complex_numIdEPKS3_PKPS1_EvbiiT2_T3_lllSA_lllT4_llli
		.amdhsa_group_segment_fixed_size 32768
		.amdhsa_private_segment_fixed_size 0
		.amdhsa_kernarg_size 384
		.amdhsa_user_sgpr_count 13
		.amdhsa_user_sgpr_dispatch_ptr 0
		.amdhsa_user_sgpr_queue_ptr 0
		.amdhsa_user_sgpr_kernarg_segment_ptr 1
		.amdhsa_user_sgpr_dispatch_id 0
		.amdhsa_user_sgpr_private_segment_size 0
		.amdhsa_wavefront_size32 1
		.amdhsa_uses_dynamic_stack 0
		.amdhsa_enable_private_segment 0
		.amdhsa_system_sgpr_workgroup_id_x 1
		.amdhsa_system_sgpr_workgroup_id_y 1
		.amdhsa_system_sgpr_workgroup_id_z 1
		.amdhsa_system_sgpr_workgroup_info 0
		.amdhsa_system_vgpr_workitem_id 1
		.amdhsa_next_free_vgpr 57
		.amdhsa_next_free_sgpr 36
		.amdhsa_reserve_vcc 1
		.amdhsa_float_round_mode_32 0
		.amdhsa_float_round_mode_16_64 0
		.amdhsa_float_denorm_mode_32 3
		.amdhsa_float_denorm_mode_16_64 3
		.amdhsa_dx10_clamp 1
		.amdhsa_ieee_mode 1
		.amdhsa_fp16_overflow 0
		.amdhsa_workgroup_processor_mode 1
		.amdhsa_memory_ordered 1
		.amdhsa_forward_progress 0
		.amdhsa_shared_vgpr_count 0
		.amdhsa_exception_fp_ieee_invalid_op 0
		.amdhsa_exception_fp_denorm_src 0
		.amdhsa_exception_fp_ieee_div_zero 0
		.amdhsa_exception_fp_ieee_overflow 0
		.amdhsa_exception_fp_ieee_underflow 0
		.amdhsa_exception_fp_ieee_inexact 0
		.amdhsa_exception_int_div_zero 0
	.end_amdhsa_kernel
	.section	.text._ZL24rocblas_symm_hemm_kernelILb1ELb0ELi32EPK19rocblas_complex_numIdEPKS3_PKPS1_EvbiiT2_T3_lllSA_lllT4_llli,"axG",@progbits,_ZL24rocblas_symm_hemm_kernelILb1ELb0ELi32EPK19rocblas_complex_numIdEPKS3_PKPS1_EvbiiT2_T3_lllSA_lllT4_llli,comdat
.Lfunc_end60:
	.size	_ZL24rocblas_symm_hemm_kernelILb1ELb0ELi32EPK19rocblas_complex_numIdEPKS3_PKPS1_EvbiiT2_T3_lllSA_lllT4_llli, .Lfunc_end60-_ZL24rocblas_symm_hemm_kernelILb1ELb0ELi32EPK19rocblas_complex_numIdEPKS3_PKPS1_EvbiiT2_T3_lllSA_lllT4_llli
                                        ; -- End function
	.section	.AMDGPU.csdata,"",@progbits
; Kernel info:
; codeLenInByte = 1824
; NumSgprs: 38
; NumVgprs: 57
; ScratchSize: 0
; MemoryBound: 1
; FloatMode: 240
; IeeeMode: 1
; LDSByteSize: 32768 bytes/workgroup (compile time only)
; SGPRBlocks: 4
; VGPRBlocks: 7
; NumSGPRsForWavesPerEU: 38
; NumVGPRsForWavesPerEU: 57
; Occupancy: 16
; WaveLimiterHint : 1
; COMPUTE_PGM_RSRC2:SCRATCH_EN: 0
; COMPUTE_PGM_RSRC2:USER_SGPR: 13
; COMPUTE_PGM_RSRC2:TRAP_HANDLER: 0
; COMPUTE_PGM_RSRC2:TGID_X_EN: 1
; COMPUTE_PGM_RSRC2:TGID_Y_EN: 1
; COMPUTE_PGM_RSRC2:TGID_Z_EN: 1
; COMPUTE_PGM_RSRC2:TIDIG_COMP_CNT: 1
	.section	.text._ZL24rocblas_symm_hemm_kernelILb1ELb1ELi32EPK19rocblas_complex_numIdEPKS3_PKPS1_EvbiiT2_T3_lllSA_lllT4_llli,"axG",@progbits,_ZL24rocblas_symm_hemm_kernelILb1ELb1ELi32EPK19rocblas_complex_numIdEPKS3_PKPS1_EvbiiT2_T3_lllSA_lllT4_llli,comdat
	.globl	_ZL24rocblas_symm_hemm_kernelILb1ELb1ELi32EPK19rocblas_complex_numIdEPKS3_PKPS1_EvbiiT2_T3_lllSA_lllT4_llli ; -- Begin function _ZL24rocblas_symm_hemm_kernelILb1ELb1ELi32EPK19rocblas_complex_numIdEPKS3_PKPS1_EvbiiT2_T3_lllSA_lllT4_llli
	.p2align	8
	.type	_ZL24rocblas_symm_hemm_kernelILb1ELb1ELi32EPK19rocblas_complex_numIdEPKS3_PKPS1_EvbiiT2_T3_lllSA_lllT4_llli,@function
_ZL24rocblas_symm_hemm_kernelILb1ELb1ELi32EPK19rocblas_complex_numIdEPKS3_PKPS1_EvbiiT2_T3_lllSA_lllT4_llli: ; @_ZL24rocblas_symm_hemm_kernelILb1ELb1ELi32EPK19rocblas_complex_numIdEPKS3_PKPS1_EvbiiT2_T3_lllSA_lllT4_llli
; %bb.0:
	s_load_b256 s[4:11], s[0:1], 0x10
	s_waitcnt lgkmcnt(0)
	s_load_b128 s[16:19], s[4:5], 0x0
	s_waitcnt lgkmcnt(0)
	v_cmp_eq_f64_e64 s3, s[16:17], 0
	v_cmp_eq_f64_e64 s4, s[18:19], 0
	s_delay_alu instid0(VALU_DEP_1) | instskip(NEXT) | instid1(SALU_CYCLE_1)
	s_and_b32 s3, s3, s4
	s_and_b32 vcc_lo, exec_lo, s3
	s_cbranch_vccnz .LBB61_23
; %bb.1:
	s_load_b128 s[20:23], s[0:1], 0x0
	s_waitcnt lgkmcnt(0)
	s_add_i32 s3, s22, -1
	s_delay_alu instid0(SALU_CYCLE_1) | instskip(NEXT) | instid1(SALU_CYCLE_1)
	s_ashr_i32 s4, s3, 31
	s_lshr_b32 s4, s4, 27
	s_delay_alu instid0(SALU_CYCLE_1) | instskip(NEXT) | instid1(SALU_CYCLE_1)
	s_add_i32 s3, s3, s4
	s_ashr_i32 s12, s3, 5
	s_delay_alu instid0(SALU_CYCLE_1)
	s_cmp_gt_i32 s14, s12
	s_cbranch_scc1 .LBB61_23
; %bb.2:
	s_mov_b32 s2, s15
	s_mov_b32 s3, 0
	v_and_b32_e32 v15, 0x3ff, v0
	s_lshl_b64 s[30:31], s[2:3], 3
	v_bfe_u32 v16, v0, 10, 10
	s_add_u32 s2, s6, s30
	s_addc_u32 s3, s7, s31
	s_load_b64 s[34:35], s[2:3], 0x0
	s_clause 0x2
	s_load_b128 s[4:7], s[0:1], 0x38
	s_load_b128 s[24:27], s[0:1], 0x58
	s_load_b64 s[28:29], s[0:1], 0x48
	s_lshl_b64 s[36:37], s[8:9], 4
	v_lshl_add_u32 v0, s13, 5, v15
	s_load_b64 s[8:9], s[0:1], 0x68
	v_lshlrev_b32_e32 v2, 4, v16
	v_lshlrev_b32_e32 v17, 9, v15
	s_delay_alu instid0(VALU_DEP_3) | instskip(NEXT) | instid1(VALU_DEP_3)
	v_ashrrev_i32_e32 v1, 31, v0
	v_or_b32_e32 v19, 0x4000, v2
	s_delay_alu instid0(VALU_DEP_3) | instskip(NEXT) | instid1(VALU_DEP_2)
	v_add_nc_u32_e32 v18, v17, v2
	v_add_nc_u32_e32 v20, v19, v17
	s_waitcnt lgkmcnt(0)
	s_add_u32 s3, s34, s36
	s_addc_u32 s15, s35, s37
	s_add_u32 s4, s4, s30
	s_addc_u32 s5, s5, s31
	;; [unrolled: 2-line block ×3, first 2 shown]
	s_load_b64 s[30:31], s[4:5], 0x0
	s_load_b32 s4, s[0:1], 0x84
	s_load_b64 s[24:25], s[24:25], 0x0
	v_cmp_gt_i32_e64 s0, s21, v0
	s_bitcmp1_b32 s20, 0
	v_lshlrev_b64 v[0:1], 4, v[0:1]
	s_cselect_b32 s1, -1, 0
	s_lshl_b64 s[20:21], s[26:27], 4
	s_waitcnt lgkmcnt(0)
	s_add_u32 s2, s24, s20
	s_addc_u32 s5, s25, s21
	s_lshl_b64 s[6:7], s[6:7], 4
	v_add_co_u32 v21, vcc_lo, s2, v0
	s_add_u32 s6, s30, s6
	v_add_co_ci_u32_e32 v22, vcc_lo, s5, v1, vcc_lo
	s_addc_u32 s2, s31, s7
	v_add_co_u32 v23, vcc_lo, s6, v0
	v_add_co_ci_u32_e32 v24, vcc_lo, s2, v1, vcc_lo
	s_cmp_gt_i32 s22, 0
	s_cselect_b32 s5, -1, 0
	s_branch .LBB61_4
.LBB61_3:                               ;   in Loop: Header=BB61_4 Depth=1
	s_add_i32 s14, s14, s4
	s_delay_alu instid0(SALU_CYCLE_1)
	s_cmp_gt_i32 s14, s12
	s_cbranch_scc1 .LBB61_23
.LBB61_4:                               ; =>This Loop Header: Depth=1
                                        ;     Child Loop BB61_7 Depth 2
                                        ;       Child Loop BB61_21 Depth 3
	s_and_not1_b32 vcc_lo, exec_lo, s5
	s_cbranch_vccnz .LBB61_3
; %bb.5:                                ;   in Loop: Header=BB61_4 Depth=1
	v_lshl_add_u32 v8, s14, 5, v16
	s_mov_b32 s7, 0
	s_delay_alu instid0(VALU_DEP_1) | instskip(SKIP_3) | instid1(VALU_DEP_4)
	v_ashrrev_i32_e32 v9, 31, v8
	v_mul_lo_u32 v4, v8, s11
	v_mad_u64_u32 v[0:1], null, v8, s10, 0
	v_mul_lo_u32 v6, v8, s9
	v_mul_lo_u32 v5, v9, s10
	v_mad_u64_u32 v[2:3], null, v8, s8, 0
	v_mul_lo_u32 v7, v9, s8
	v_cmp_gt_i32_e32 vcc_lo, s22, v8
	s_delay_alu instid0(VALU_DEP_4) | instskip(SKIP_2) | instid1(VALU_DEP_4)
	v_add3_u32 v1, v1, v4, v5
	v_lshlrev_b64 v[4:5], 4, v[8:9]
	s_and_b32 s6, s0, vcc_lo
	v_add3_u32 v3, v3, v6, v7
	s_delay_alu instid0(VALU_DEP_3) | instskip(NEXT) | instid1(VALU_DEP_3)
	v_lshlrev_b64 v[0:1], 4, v[0:1]
	v_add_co_u32 v25, s2, s3, v4
	s_delay_alu instid0(VALU_DEP_3) | instskip(SKIP_1) | instid1(VALU_DEP_4)
	v_lshlrev_b64 v[2:3], 4, v[2:3]
	v_add_co_ci_u32_e64 v26, s2, s15, v5, s2
	v_add_co_u32 v27, s2, s3, v0
	s_delay_alu instid0(VALU_DEP_1) | instskip(NEXT) | instid1(VALU_DEP_4)
	v_add_co_ci_u32_e64 v28, s2, s15, v1, s2
	v_add_co_u32 v9, s2, v21, v2
	s_delay_alu instid0(VALU_DEP_1) | instskip(NEXT) | instid1(VALU_DEP_4)
	v_add_co_ci_u32_e64 v10, s2, v22, v3, s2
	v_add_co_u32 v11, s2, v27, v4
	s_delay_alu instid0(VALU_DEP_1)
	v_add_co_ci_u32_e64 v12, s2, v28, v5, s2
	s_branch .LBB61_7
.LBB61_6:                               ;   in Loop: Header=BB61_7 Depth=2
	s_or_b32 exec_lo, exec_lo, s2
	s_add_i32 s7, s7, 32
	s_waitcnt_vscnt null, 0x0
	s_cmp_ge_i32 s7, s22
	s_barrier
	buffer_gl0_inv
	s_cbranch_scc1 .LBB61_3
.LBB61_7:                               ;   Parent Loop BB61_4 Depth=1
                                        ; =>  This Loop Header: Depth=2
                                        ;       Child Loop BB61_21 Depth 3
	v_add_nc_u32_e32 v2, s7, v16
	v_mov_b32_e32 v0, 0
	v_mov_b32_e32 v1, 0
	s_delay_alu instid0(VALU_DEP_3) | instskip(NEXT) | instid1(VALU_DEP_2)
	v_cmp_gt_i32_e32 vcc_lo, s22, v2
	v_dual_mov_b32 v5, v1 :: v_dual_mov_b32 v4, v0
	v_dual_mov_b32 v7, v1 :: v_dual_mov_b32 v6, v0
	s_and_b32 s13, s0, vcc_lo
	s_delay_alu instid0(SALU_CYCLE_1)
	s_and_saveexec_b32 s2, s13
	s_cbranch_execz .LBB61_9
; %bb.8:                                ;   in Loop: Header=BB61_7 Depth=2
	v_ashrrev_i32_e32 v5, 31, v2
	v_mul_lo_u32 v6, v2, s29
	v_mad_u64_u32 v[3:4], null, v2, s28, 0
	s_delay_alu instid0(VALU_DEP_3) | instskip(NEXT) | instid1(VALU_DEP_1)
	v_mul_lo_u32 v2, v5, s28
	v_add3_u32 v4, v4, v6, v2
	s_delay_alu instid0(VALU_DEP_1) | instskip(NEXT) | instid1(VALU_DEP_1)
	v_lshlrev_b64 v[2:3], 4, v[3:4]
	v_add_co_u32 v2, vcc_lo, v23, v2
	s_delay_alu instid0(VALU_DEP_2)
	v_add_co_ci_u32_e32 v3, vcc_lo, v24, v3, vcc_lo
	global_load_b128 v[4:7], v[2:3], off
.LBB61_9:                               ;   in Loop: Header=BB61_7 Depth=2
	s_or_b32 exec_lo, exec_lo, s2
	v_add_nc_u32_e32 v13, s7, v15
	s_mov_b32 s13, exec_lo
	s_waitcnt vmcnt(0)
	ds_store_b128 v18, v[4:7]
	v_cndmask_b32_e64 v2, v8, v13, s1
	v_cndmask_b32_e64 v3, v13, v8, s1
	s_delay_alu instid0(VALU_DEP_1) | instskip(SKIP_3) | instid1(VALU_DEP_3)
	v_cmp_gt_i32_e32 vcc_lo, v2, v3
	v_dual_cndmask_b32 v14, v13, v8 :: v_dual_cndmask_b32 v29, v8, v13
	v_cmp_le_i32_e32 vcc_lo, v2, v3
	v_dual_mov_b32 v3, v1 :: v_dual_mov_b32 v2, v0
	v_max_i32_e32 v14, v14, v29
	s_delay_alu instid0(VALU_DEP_1)
	v_cmpx_gt_i32_e64 s22, v14
	s_cbranch_execz .LBB61_19
; %bb.10:                               ;   in Loop: Header=BB61_7 Depth=2
                                        ; implicit-def: $vgpr2_vgpr3
	s_and_saveexec_b32 s2, vcc_lo
	s_delay_alu instid0(SALU_CYCLE_1)
	s_xor_b32 s2, exec_lo, s2
	s_cbranch_execz .LBB61_16
; %bb.11:                               ;   in Loop: Header=BB61_7 Depth=2
	s_mov_b32 s20, exec_lo
                                        ; implicit-def: $vgpr2_vgpr3
	v_cmpx_ne_u32_e64 v13, v8
	s_xor_b32 s20, exec_lo, s20
	s_cbranch_execz .LBB61_13
; %bb.12:                               ;   in Loop: Header=BB61_7 Depth=2
	v_ashrrev_i32_e32 v14, 31, v13
	s_delay_alu instid0(VALU_DEP_1) | instskip(NEXT) | instid1(VALU_DEP_1)
	v_lshlrev_b64 v[0:1], 4, v[13:14]
	v_add_co_u32 v0, vcc_lo, v27, v0
	s_delay_alu instid0(VALU_DEP_2)
	v_add_co_ci_u32_e32 v1, vcc_lo, v28, v1, vcc_lo
	global_load_b128 v[0:3], v[0:1], off
.LBB61_13:                              ;   in Loop: Header=BB61_7 Depth=2
	s_and_not1_saveexec_b32 s20, s20
	s_cbranch_execz .LBB61_15
; %bb.14:                               ;   in Loop: Header=BB61_7 Depth=2
	global_load_b64 v[0:1], v[11:12], off
	s_waitcnt vmcnt(1)
	v_mov_b32_e32 v2, 0
	v_mov_b32_e32 v3, 0
.LBB61_15:                              ;   in Loop: Header=BB61_7 Depth=2
	s_or_b32 exec_lo, exec_lo, s20
                                        ; implicit-def: $vgpr13
.LBB61_16:                              ;   in Loop: Header=BB61_7 Depth=2
	s_and_not1_saveexec_b32 s2, s2
	s_cbranch_execz .LBB61_18
; %bb.17:                               ;   in Loop: Header=BB61_7 Depth=2
	s_waitcnt vmcnt(0)
	v_ashrrev_i32_e32 v2, 31, v13
	v_mul_lo_u32 v3, v13, s11
	v_mad_u64_u32 v[0:1], null, v13, s10, 0
	s_delay_alu instid0(VALU_DEP_3) | instskip(NEXT) | instid1(VALU_DEP_1)
	v_mul_lo_u32 v2, v2, s10
	v_add3_u32 v1, v1, v3, v2
	s_delay_alu instid0(VALU_DEP_1) | instskip(NEXT) | instid1(VALU_DEP_1)
	v_lshlrev_b64 v[0:1], 4, v[0:1]
	v_add_co_u32 v0, vcc_lo, v25, v0
	s_delay_alu instid0(VALU_DEP_2)
	v_add_co_ci_u32_e32 v1, vcc_lo, v26, v1, vcc_lo
	global_load_b128 v[0:3], v[0:1], off
	s_waitcnt vmcnt(0)
	v_xor_b32_e32 v3, 0x80000000, v3
.LBB61_18:                              ;   in Loop: Header=BB61_7 Depth=2
	s_or_b32 exec_lo, exec_lo, s2
.LBB61_19:                              ;   in Loop: Header=BB61_7 Depth=2
	s_delay_alu instid0(SALU_CYCLE_1)
	s_or_b32 exec_lo, exec_lo, s13
	s_waitcnt vmcnt(0)
	ds_store_b128 v20, v[0:3]
	s_waitcnt lgkmcnt(0)
	s_barrier
	buffer_gl0_inv
	s_and_saveexec_b32 s2, s6
	s_cbranch_execz .LBB61_6
; %bb.20:                               ;   in Loop: Header=BB61_7 Depth=2
	v_mov_b32_e32 v0, 0
	v_dual_mov_b32 v1, 0 :: v_dual_mov_b32 v4, v19
	s_mov_b32 s13, 0
	s_delay_alu instid0(VALU_DEP_1)
	v_dual_mov_b32 v3, v1 :: v_dual_mov_b32 v2, v0
.LBB61_21:                              ;   Parent Loop BB61_4 Depth=1
                                        ;     Parent Loop BB61_7 Depth=2
                                        ; =>    This Inner Loop Header: Depth=3
	v_add_nc_u32_e32 v7, s13, v17
	s_addk_i32 s13, 0x80
	ds_load_b128 v[29:32], v4
	ds_load_b128 v[33:36], v7
	ds_load_b128 v[37:40], v4 offset:512
	ds_load_b128 v[41:44], v7 offset:16
	s_cmpk_eq_i32 s13, 0x200
	s_waitcnt lgkmcnt(2)
	v_mul_f64 v[5:6], v[31:32], v[35:36]
	v_mul_f64 v[13:14], v[29:30], v[35:36]
	s_waitcnt lgkmcnt(0)
	v_mul_f64 v[51:52], v[39:40], v[43:44]
	v_mul_f64 v[53:54], v[37:38], v[43:44]
	s_delay_alu instid0(VALU_DEP_4) | instskip(NEXT) | instid1(VALU_DEP_4)
	v_fma_f64 v[5:6], v[29:30], v[33:34], -v[5:6]
	v_fma_f64 v[13:14], v[31:32], v[33:34], v[13:14]
	ds_load_b128 v[29:32], v4 offset:1024
	ds_load_b128 v[33:36], v7 offset:32
	;; [unrolled: 1-line block ×4, first 2 shown]
	v_fma_f64 v[37:38], v[37:38], v[41:42], -v[51:52]
	v_fma_f64 v[39:40], v[39:40], v[41:42], v[53:54]
	s_waitcnt lgkmcnt(2)
	v_mul_f64 v[55:56], v[31:32], v[35:36]
	v_mul_f64 v[35:36], v[29:30], v[35:36]
	v_add_f64 v[0:1], v[0:1], v[5:6]
	v_add_f64 v[2:3], v[2:3], v[13:14]
	s_waitcnt lgkmcnt(0)
	v_mul_f64 v[5:6], v[45:46], v[49:50]
	v_mul_f64 v[13:14], v[43:44], v[49:50]
	v_fma_f64 v[41:42], v[29:30], v[33:34], -v[55:56]
	v_fma_f64 v[49:50], v[31:32], v[33:34], v[35:36]
	v_add_f64 v[51:52], v[0:1], v[37:38]
	v_add_f64 v[53:54], v[2:3], v[39:40]
	ds_load_b128 v[0:3], v4 offset:2048
	ds_load_b128 v[29:32], v7 offset:64
	;; [unrolled: 1-line block ×4, first 2 shown]
	v_fma_f64 v[5:6], v[43:44], v[47:48], -v[5:6]
	v_fma_f64 v[13:14], v[45:46], v[47:48], v[13:14]
	s_waitcnt lgkmcnt(2)
	v_mul_f64 v[55:56], v[2:3], v[31:32]
	v_mul_f64 v[31:32], v[0:1], v[31:32]
	s_waitcnt lgkmcnt(0)
	v_mul_f64 v[47:48], v[35:36], v[39:40]
	v_add_f64 v[41:42], v[51:52], v[41:42]
	v_add_f64 v[43:44], v[53:54], v[49:50]
	v_mul_f64 v[49:50], v[33:34], v[39:40]
	v_fma_f64 v[51:52], v[0:1], v[29:30], -v[55:56]
	v_fma_f64 v[53:54], v[2:3], v[29:30], v[31:32]
	v_fma_f64 v[33:34], v[33:34], v[37:38], -v[47:48]
	v_add_f64 v[5:6], v[41:42], v[5:6]
	v_add_f64 v[13:14], v[43:44], v[13:14]
	ds_load_b128 v[0:3], v4 offset:3072
	ds_load_b128 v[29:32], v7 offset:96
	;; [unrolled: 1-line block ×4, first 2 shown]
	v_fma_f64 v[35:36], v[35:36], v[37:38], v[49:50]
	v_add_nc_u32_e32 v4, 0x1000, v4
	s_waitcnt lgkmcnt(2)
	v_mul_f64 v[55:56], v[2:3], v[31:32]
	v_mul_f64 v[31:32], v[0:1], v[31:32]
	s_waitcnt lgkmcnt(0)
	v_mul_f64 v[37:38], v[41:42], v[45:46]
	v_mul_f64 v[45:46], v[39:40], v[45:46]
	v_add_f64 v[5:6], v[5:6], v[51:52]
	v_add_f64 v[13:14], v[13:14], v[53:54]
	v_fma_f64 v[0:1], v[0:1], v[29:30], -v[55:56]
	v_fma_f64 v[2:3], v[2:3], v[29:30], v[31:32]
	v_fma_f64 v[29:30], v[39:40], v[43:44], -v[37:38]
	v_fma_f64 v[31:32], v[41:42], v[43:44], v[45:46]
	v_add_f64 v[5:6], v[5:6], v[33:34]
	v_add_f64 v[13:14], v[13:14], v[35:36]
	s_delay_alu instid0(VALU_DEP_2) | instskip(NEXT) | instid1(VALU_DEP_2)
	v_add_f64 v[0:1], v[5:6], v[0:1]
	v_add_f64 v[2:3], v[13:14], v[2:3]
	s_delay_alu instid0(VALU_DEP_2) | instskip(NEXT) | instid1(VALU_DEP_2)
	v_add_f64 v[0:1], v[0:1], v[29:30]
	v_add_f64 v[2:3], v[2:3], v[31:32]
	s_cbranch_scc0 .LBB61_21
; %bb.22:                               ;   in Loop: Header=BB61_7 Depth=2
	global_load_b128 v[4:7], v[9:10], off
	v_mul_f64 v[13:14], s[18:19], v[2:3]
	v_mul_f64 v[29:30], s[18:19], v[0:1]
	s_delay_alu instid0(VALU_DEP_2) | instskip(NEXT) | instid1(VALU_DEP_2)
	v_fma_f64 v[0:1], s[16:17], v[0:1], -v[13:14]
	v_fma_f64 v[2:3], s[16:17], v[2:3], v[29:30]
	s_waitcnt vmcnt(0)
	s_delay_alu instid0(VALU_DEP_2) | instskip(NEXT) | instid1(VALU_DEP_2)
	v_add_f64 v[0:1], v[0:1], v[4:5]
	v_add_f64 v[2:3], v[2:3], v[6:7]
	global_store_b128 v[9:10], v[0:3], off
	s_branch .LBB61_6
.LBB61_23:
	s_endpgm
	.section	.rodata,"a",@progbits
	.p2align	6, 0x0
	.amdhsa_kernel _ZL24rocblas_symm_hemm_kernelILb1ELb1ELi32EPK19rocblas_complex_numIdEPKS3_PKPS1_EvbiiT2_T3_lllSA_lllT4_llli
		.amdhsa_group_segment_fixed_size 32768
		.amdhsa_private_segment_fixed_size 0
		.amdhsa_kernarg_size 384
		.amdhsa_user_sgpr_count 13
		.amdhsa_user_sgpr_dispatch_ptr 0
		.amdhsa_user_sgpr_queue_ptr 0
		.amdhsa_user_sgpr_kernarg_segment_ptr 1
		.amdhsa_user_sgpr_dispatch_id 0
		.amdhsa_user_sgpr_private_segment_size 0
		.amdhsa_wavefront_size32 1
		.amdhsa_uses_dynamic_stack 0
		.amdhsa_enable_private_segment 0
		.amdhsa_system_sgpr_workgroup_id_x 1
		.amdhsa_system_sgpr_workgroup_id_y 1
		.amdhsa_system_sgpr_workgroup_id_z 1
		.amdhsa_system_sgpr_workgroup_info 0
		.amdhsa_system_vgpr_workitem_id 1
		.amdhsa_next_free_vgpr 57
		.amdhsa_next_free_sgpr 38
		.amdhsa_reserve_vcc 1
		.amdhsa_float_round_mode_32 0
		.amdhsa_float_round_mode_16_64 0
		.amdhsa_float_denorm_mode_32 3
		.amdhsa_float_denorm_mode_16_64 3
		.amdhsa_dx10_clamp 1
		.amdhsa_ieee_mode 1
		.amdhsa_fp16_overflow 0
		.amdhsa_workgroup_processor_mode 1
		.amdhsa_memory_ordered 1
		.amdhsa_forward_progress 0
		.amdhsa_shared_vgpr_count 0
		.amdhsa_exception_fp_ieee_invalid_op 0
		.amdhsa_exception_fp_denorm_src 0
		.amdhsa_exception_fp_ieee_div_zero 0
		.amdhsa_exception_fp_ieee_overflow 0
		.amdhsa_exception_fp_ieee_underflow 0
		.amdhsa_exception_fp_ieee_inexact 0
		.amdhsa_exception_int_div_zero 0
	.end_amdhsa_kernel
	.section	.text._ZL24rocblas_symm_hemm_kernelILb1ELb1ELi32EPK19rocblas_complex_numIdEPKS3_PKPS1_EvbiiT2_T3_lllSA_lllT4_llli,"axG",@progbits,_ZL24rocblas_symm_hemm_kernelILb1ELb1ELi32EPK19rocblas_complex_numIdEPKS3_PKPS1_EvbiiT2_T3_lllSA_lllT4_llli,comdat
.Lfunc_end61:
	.size	_ZL24rocblas_symm_hemm_kernelILb1ELb1ELi32EPK19rocblas_complex_numIdEPKS3_PKPS1_EvbiiT2_T3_lllSA_lllT4_llli, .Lfunc_end61-_ZL24rocblas_symm_hemm_kernelILb1ELb1ELi32EPK19rocblas_complex_numIdEPKS3_PKPS1_EvbiiT2_T3_lllSA_lllT4_llli
                                        ; -- End function
	.section	.AMDGPU.csdata,"",@progbits
; Kernel info:
; codeLenInByte = 1804
; NumSgprs: 40
; NumVgprs: 57
; ScratchSize: 0
; MemoryBound: 1
; FloatMode: 240
; IeeeMode: 1
; LDSByteSize: 32768 bytes/workgroup (compile time only)
; SGPRBlocks: 4
; VGPRBlocks: 7
; NumSGPRsForWavesPerEU: 40
; NumVGPRsForWavesPerEU: 57
; Occupancy: 16
; WaveLimiterHint : 1
; COMPUTE_PGM_RSRC2:SCRATCH_EN: 0
; COMPUTE_PGM_RSRC2:USER_SGPR: 13
; COMPUTE_PGM_RSRC2:TRAP_HANDLER: 0
; COMPUTE_PGM_RSRC2:TGID_X_EN: 1
; COMPUTE_PGM_RSRC2:TGID_Y_EN: 1
; COMPUTE_PGM_RSRC2:TGID_Z_EN: 1
; COMPUTE_PGM_RSRC2:TIDIG_COMP_CNT: 1
	.section	.text._ZL24rocblas_symm_hemm_kernelILb1ELb0ELi32E19rocblas_complex_numIdEPKPKS1_PKPS1_EvbiiT2_T3_lllSA_lllT4_llli,"axG",@progbits,_ZL24rocblas_symm_hemm_kernelILb1ELb0ELi32E19rocblas_complex_numIdEPKPKS1_PKPS1_EvbiiT2_T3_lllSA_lllT4_llli,comdat
	.globl	_ZL24rocblas_symm_hemm_kernelILb1ELb0ELi32E19rocblas_complex_numIdEPKPKS1_PKPS1_EvbiiT2_T3_lllSA_lllT4_llli ; -- Begin function _ZL24rocblas_symm_hemm_kernelILb1ELb0ELi32E19rocblas_complex_numIdEPKPKS1_PKPS1_EvbiiT2_T3_lllSA_lllT4_llli
	.p2align	8
	.type	_ZL24rocblas_symm_hemm_kernelILb1ELb0ELi32E19rocblas_complex_numIdEPKPKS1_PKPS1_EvbiiT2_T3_lllSA_lllT4_llli,@function
_ZL24rocblas_symm_hemm_kernelILb1ELb0ELi32E19rocblas_complex_numIdEPKPKS1_PKPS1_EvbiiT2_T3_lllSA_lllT4_llli: ; @_ZL24rocblas_symm_hemm_kernelILb1ELb0ELi32E19rocblas_complex_numIdEPKPKS1_PKPS1_EvbiiT2_T3_lllSA_lllT4_llli
; %bb.0:
	s_load_b256 s[4:11], s[0:1], 0x10
	s_waitcnt lgkmcnt(0)
	v_cmp_eq_f64_e64 s3, s[4:5], 0
	v_cmp_eq_f64_e64 s12, s[6:7], 0
	s_delay_alu instid0(VALU_DEP_1) | instskip(NEXT) | instid1(SALU_CYCLE_1)
	s_and_b32 s3, s3, s12
	s_and_b32 vcc_lo, exec_lo, s3
	s_cbranch_vccnz .LBB62_23
; %bb.1:
	s_load_b128 s[16:19], s[0:1], 0x0
	s_mov_b32 s2, s15
	s_waitcnt lgkmcnt(0)
	s_add_i32 s3, s18, -1
	s_delay_alu instid0(SALU_CYCLE_1) | instskip(NEXT) | instid1(SALU_CYCLE_1)
	s_ashr_i32 s12, s3, 31
	s_lshr_b32 s12, s12, 27
	s_delay_alu instid0(SALU_CYCLE_1) | instskip(NEXT) | instid1(SALU_CYCLE_1)
	s_add_i32 s3, s3, s12
	s_ashr_i32 s15, s3, 5
	s_delay_alu instid0(SALU_CYCLE_1)
	s_cmp_gt_i32 s14, s15
	s_cbranch_scc1 .LBB62_23
; %bb.2:
	s_load_b128 s[24:27], s[0:1], 0x40
	s_mov_b32 s3, 0
	v_and_b32_e32 v15, 0x3ff, v0
	s_lshl_b64 s[2:3], s[2:3], 3
	v_bfe_u32 v16, v0, 10, 10
	s_add_u32 s28, s8, s2
	s_addc_u32 s29, s9, s3
	v_lshl_add_u32 v8, s13, 5, v15
	v_lshlrev_b32_e32 v17, 9, v15
	v_lshlrev_b32_e32 v2, 4, v16
	s_delay_alu instid0(VALU_DEP_3) | instskip(NEXT) | instid1(VALU_DEP_2)
	v_ashrrev_i32_e32 v9, 31, v8
	v_add_nc_u32_e32 v18, v17, v2
	v_or_b32_e32 v19, 0x4000, v2
	s_delay_alu instid0(VALU_DEP_3) | instskip(NEXT) | instid1(VALU_DEP_2)
	v_lshlrev_b64 v[2:3], 4, v[8:9]
	v_add_nc_u32_e32 v20, v19, v17
	s_waitcnt lgkmcnt(0)
	s_add_u32 s8, s24, s2
	s_addc_u32 s9, s25, s3
	s_load_b64 s[24:25], s[8:9], 0x0
	s_clause 0x1
	s_load_b128 s[20:23], s[0:1], 0x60
	s_load_b64 s[8:9], s[0:1], 0x30
	s_lshl_b64 s[26:27], s[26:27], 4
	s_waitcnt lgkmcnt(0)
	s_add_u32 s19, s24, s26
	s_addc_u32 s24, s25, s27
	s_add_u32 s2, s20, s2
	s_addc_u32 s3, s21, s3
	s_load_b64 s[2:3], s[2:3], 0x0
	s_load_b64 s[12:13], s[0:1], 0x50
	;; [unrolled: 1-line block ×3, first 2 shown]
	v_mul_lo_u32 v4, v9, s8
	v_mul_lo_u32 v5, v8, s9
	v_mad_u64_u32 v[0:1], null, v8, s8, 0
	s_bitcmp1_b32 s16, 0
	s_clause 0x1
	s_load_b64 s[20:21], s[0:1], 0x70
	s_load_b32 s25, s[0:1], 0x8c
	s_cselect_b32 s1, -1, 0
	s_lshl_b64 s[22:23], s[22:23], 4
	v_cmp_gt_i32_e64 s0, s17, v8
	v_add3_u32 v1, v1, v5, v4
	s_delay_alu instid0(VALU_DEP_1)
	v_lshlrev_b64 v[0:1], 4, v[0:1]
	s_waitcnt lgkmcnt(0)
	s_add_u32 s16, s2, s22
	s_addc_u32 s22, s3, s23
	s_lshl_b64 s[2:3], s[10:11], 4
	v_add_co_u32 v21, vcc_lo, s16, v2
	s_add_u32 s2, s26, s2
	v_add_co_ci_u32_e32 v22, vcc_lo, s22, v3, vcc_lo
	s_addc_u32 s3, s27, s3
	v_add_co_u32 v23, vcc_lo, s2, v2
	v_add_co_ci_u32_e32 v24, vcc_lo, s3, v3, vcc_lo
	v_add_co_u32 v25, vcc_lo, s2, v0
	v_add_co_ci_u32_e32 v26, vcc_lo, s3, v1, vcc_lo
	s_delay_alu instid0(VALU_DEP_4) | instskip(NEXT) | instid1(VALU_DEP_4)
	v_add_co_u32 v9, vcc_lo, v23, v0
	v_add_co_ci_u32_e32 v10, vcc_lo, v24, v1, vcc_lo
	s_cmp_gt_i32 s17, 0
	s_cselect_b32 s10, -1, 0
	s_branch .LBB62_4
.LBB62_3:                               ;   in Loop: Header=BB62_4 Depth=1
	s_add_i32 s14, s14, s25
	s_delay_alu instid0(SALU_CYCLE_1)
	s_cmp_gt_i32 s14, s15
	s_cbranch_scc1 .LBB62_23
.LBB62_4:                               ; =>This Loop Header: Depth=1
                                        ;     Child Loop BB62_7 Depth 2
                                        ;       Child Loop BB62_21 Depth 3
	s_and_not1_b32 vcc_lo, exec_lo, s10
	s_cbranch_vccnz .LBB62_3
; %bb.5:                                ;   in Loop: Header=BB62_4 Depth=1
	v_lshl_add_u32 v4, s14, 5, v16
	s_mov_b32 s16, 0
	s_delay_alu instid0(VALU_DEP_1) | instskip(SKIP_3) | instid1(VALU_DEP_4)
	v_ashrrev_i32_e32 v5, 31, v4
	v_mul_lo_u32 v6, v4, s13
	v_mad_u64_u32 v[0:1], null, v4, s12, 0
	v_mul_lo_u32 v11, v4, s21
	v_mul_lo_u32 v7, v5, s12
	v_mad_u64_u32 v[2:3], null, v4, s20, 0
	v_mul_lo_u32 v5, v5, s20
	v_cmp_gt_i32_e32 vcc_lo, s18, v4
	s_delay_alu instid0(VALU_DEP_4) | instskip(SKIP_1) | instid1(VALU_DEP_3)
	v_add3_u32 v1, v1, v6, v7
	s_and_b32 s11, s0, vcc_lo
	v_add3_u32 v3, v3, v11, v5
	s_delay_alu instid0(VALU_DEP_2) | instskip(NEXT) | instid1(VALU_DEP_2)
	v_lshlrev_b64 v[0:1], 4, v[0:1]
	v_lshlrev_b64 v[2:3], 4, v[2:3]
	s_delay_alu instid0(VALU_DEP_2) | instskip(NEXT) | instid1(VALU_DEP_1)
	v_add_co_u32 v27, s2, s19, v0
	v_add_co_ci_u32_e64 v28, s2, s24, v1, s2
	s_delay_alu instid0(VALU_DEP_3) | instskip(NEXT) | instid1(VALU_DEP_1)
	v_add_co_u32 v11, s2, v21, v2
	v_add_co_ci_u32_e64 v12, s2, v22, v3, s2
	s_branch .LBB62_7
.LBB62_6:                               ;   in Loop: Header=BB62_7 Depth=2
	s_or_b32 exec_lo, exec_lo, s2
	s_add_i32 s16, s16, 32
	s_waitcnt_vscnt null, 0x0
	s_cmp_ge_i32 s16, s17
	s_barrier
	buffer_gl0_inv
	s_cbranch_scc1 .LBB62_3
.LBB62_7:                               ;   Parent Loop BB62_4 Depth=1
                                        ; =>  This Loop Header: Depth=2
                                        ;       Child Loop BB62_21 Depth 3
	v_add_nc_u32_e32 v2, s16, v16
	v_mov_b32_e32 v0, 0
	v_mov_b32_e32 v1, 0
	s_delay_alu instid0(VALU_DEP_3) | instskip(SKIP_1) | instid1(VALU_DEP_1)
	v_cndmask_b32_e64 v3, v2, v8, s1
	v_cndmask_b32_e64 v6, v8, v2, s1
	v_cmp_gt_i32_e64 s2, v3, v6
	s_delay_alu instid0(VALU_DEP_1) | instskip(SKIP_2) | instid1(VALU_DEP_2)
	v_cndmask_b32_e64 v4, v8, v2, s2
	v_cndmask_b32_e64 v5, v2, v8, s2
	v_cmp_le_i32_e64 s2, v3, v6
	v_max_i32_e32 v7, v4, v5
	v_dual_mov_b32 v5, v1 :: v_dual_mov_b32 v4, v0
	s_delay_alu instid0(VALU_DEP_2) | instskip(SKIP_1) | instid1(VALU_DEP_2)
	v_cmp_gt_i32_e64 s3, s17, v7
	v_dual_mov_b32 v7, v1 :: v_dual_mov_b32 v6, v0
	s_and_saveexec_b32 s22, s3
	s_cbranch_execz .LBB62_17
; %bb.8:                                ;   in Loop: Header=BB62_7 Depth=2
                                        ; implicit-def: $vgpr6_vgpr7
	s_and_saveexec_b32 s3, s2
	s_delay_alu instid0(SALU_CYCLE_1)
	s_xor_b32 s3, exec_lo, s3
	s_cbranch_execz .LBB62_14
; %bb.9:                                ;   in Loop: Header=BB62_7 Depth=2
	s_mov_b32 s23, exec_lo
                                        ; implicit-def: $vgpr6_vgpr7
	v_cmpx_ne_u32_e64 v8, v2
	s_xor_b32 s23, exec_lo, s23
	s_cbranch_execz .LBB62_11
; %bb.10:                               ;   in Loop: Header=BB62_7 Depth=2
	v_ashrrev_i32_e32 v5, 31, v2
	v_mul_lo_u32 v6, v2, s9
	v_mad_u64_u32 v[3:4], null, v2, s8, 0
	s_delay_alu instid0(VALU_DEP_3) | instskip(NEXT) | instid1(VALU_DEP_1)
	v_mul_lo_u32 v2, v5, s8
	v_add3_u32 v4, v4, v6, v2
	s_delay_alu instid0(VALU_DEP_1) | instskip(NEXT) | instid1(VALU_DEP_1)
	v_lshlrev_b64 v[2:3], 4, v[3:4]
	v_add_co_u32 v2, s2, v23, v2
	s_delay_alu instid0(VALU_DEP_1)
	v_add_co_ci_u32_e64 v3, s2, v24, v3, s2
	global_load_b128 v[4:7], v[2:3], off
.LBB62_11:                              ;   in Loop: Header=BB62_7 Depth=2
	s_and_not1_saveexec_b32 s2, s23
	s_cbranch_execz .LBB62_13
; %bb.12:                               ;   in Loop: Header=BB62_7 Depth=2
	global_load_b64 v[4:5], v[9:10], off
	s_waitcnt vmcnt(1)
	v_mov_b32_e32 v6, 0
	v_mov_b32_e32 v7, 0
.LBB62_13:                              ;   in Loop: Header=BB62_7 Depth=2
	s_or_b32 exec_lo, exec_lo, s2
                                        ; implicit-def: $vgpr2
.LBB62_14:                              ;   in Loop: Header=BB62_7 Depth=2
	s_and_not1_saveexec_b32 s3, s3
	s_cbranch_execz .LBB62_16
; %bb.15:                               ;   in Loop: Header=BB62_7 Depth=2
	v_ashrrev_i32_e32 v3, 31, v2
	s_delay_alu instid0(VALU_DEP_1) | instskip(NEXT) | instid1(VALU_DEP_1)
	v_lshlrev_b64 v[2:3], 4, v[2:3]
	v_add_co_u32 v2, s2, v25, v2
	s_delay_alu instid0(VALU_DEP_1)
	v_add_co_ci_u32_e64 v3, s2, v26, v3, s2
	global_load_b128 v[4:7], v[2:3], off
	s_waitcnt vmcnt(0)
	v_xor_b32_e32 v7, 0x80000000, v7
.LBB62_16:                              ;   in Loop: Header=BB62_7 Depth=2
	s_or_b32 exec_lo, exec_lo, s3
.LBB62_17:                              ;   in Loop: Header=BB62_7 Depth=2
	s_delay_alu instid0(SALU_CYCLE_1)
	s_or_b32 exec_lo, exec_lo, s22
	v_add_nc_u32_e32 v13, s16, v15
	v_dual_mov_b32 v3, v1 :: v_dual_mov_b32 v2, v0
	s_waitcnt vmcnt(0)
	ds_store_b128 v18, v[4:7]
	v_cmp_gt_i32_e64 s2, s17, v13
	s_delay_alu instid0(VALU_DEP_1) | instskip(NEXT) | instid1(SALU_CYCLE_1)
	s_and_b32 s2, s2, vcc_lo
	s_and_saveexec_b32 s3, s2
	s_cbranch_execz .LBB62_19
; %bb.18:                               ;   in Loop: Header=BB62_7 Depth=2
	v_ashrrev_i32_e32 v14, 31, v13
	s_delay_alu instid0(VALU_DEP_1) | instskip(NEXT) | instid1(VALU_DEP_1)
	v_lshlrev_b64 v[0:1], 4, v[13:14]
	v_add_co_u32 v0, s2, v27, v0
	s_delay_alu instid0(VALU_DEP_1)
	v_add_co_ci_u32_e64 v1, s2, v28, v1, s2
	global_load_b128 v[0:3], v[0:1], off
.LBB62_19:                              ;   in Loop: Header=BB62_7 Depth=2
	s_or_b32 exec_lo, exec_lo, s3
	s_waitcnt vmcnt(0)
	ds_store_b128 v20, v[0:3]
	s_waitcnt lgkmcnt(0)
	s_barrier
	buffer_gl0_inv
	s_and_saveexec_b32 s2, s11
	s_cbranch_execz .LBB62_6
; %bb.20:                               ;   in Loop: Header=BB62_7 Depth=2
	v_mov_b32_e32 v0, 0
	v_dual_mov_b32 v1, 0 :: v_dual_mov_b32 v4, v19
	s_mov_b32 s3, 0
	s_delay_alu instid0(VALU_DEP_1)
	v_dual_mov_b32 v3, v1 :: v_dual_mov_b32 v2, v0
.LBB62_21:                              ;   Parent Loop BB62_4 Depth=1
                                        ;     Parent Loop BB62_7 Depth=2
                                        ; =>    This Inner Loop Header: Depth=3
	v_add_nc_u32_e32 v7, s3, v17
	s_addk_i32 s3, 0x80
	ds_load_b128 v[29:32], v4
	ds_load_b128 v[33:36], v7
	ds_load_b128 v[37:40], v4 offset:512
	ds_load_b128 v[41:44], v7 offset:16
	s_cmpk_eq_i32 s3, 0x200
	s_waitcnt lgkmcnt(2)
	v_mul_f64 v[5:6], v[31:32], v[35:36]
	v_mul_f64 v[13:14], v[29:30], v[35:36]
	s_waitcnt lgkmcnt(0)
	v_mul_f64 v[51:52], v[39:40], v[43:44]
	v_mul_f64 v[53:54], v[37:38], v[43:44]
	s_delay_alu instid0(VALU_DEP_4) | instskip(NEXT) | instid1(VALU_DEP_4)
	v_fma_f64 v[5:6], v[29:30], v[33:34], -v[5:6]
	v_fma_f64 v[13:14], v[31:32], v[33:34], v[13:14]
	ds_load_b128 v[29:32], v4 offset:1024
	ds_load_b128 v[33:36], v7 offset:32
	;; [unrolled: 1-line block ×4, first 2 shown]
	v_fma_f64 v[37:38], v[37:38], v[41:42], -v[51:52]
	v_fma_f64 v[39:40], v[39:40], v[41:42], v[53:54]
	s_waitcnt lgkmcnt(2)
	v_mul_f64 v[55:56], v[31:32], v[35:36]
	v_mul_f64 v[35:36], v[29:30], v[35:36]
	v_add_f64 v[0:1], v[0:1], v[5:6]
	v_add_f64 v[2:3], v[2:3], v[13:14]
	s_waitcnt lgkmcnt(0)
	v_mul_f64 v[5:6], v[45:46], v[49:50]
	v_mul_f64 v[13:14], v[43:44], v[49:50]
	v_fma_f64 v[41:42], v[29:30], v[33:34], -v[55:56]
	v_fma_f64 v[49:50], v[31:32], v[33:34], v[35:36]
	v_add_f64 v[51:52], v[0:1], v[37:38]
	v_add_f64 v[53:54], v[2:3], v[39:40]
	ds_load_b128 v[0:3], v4 offset:2048
	ds_load_b128 v[29:32], v7 offset:64
	;; [unrolled: 1-line block ×4, first 2 shown]
	v_fma_f64 v[5:6], v[43:44], v[47:48], -v[5:6]
	v_fma_f64 v[13:14], v[45:46], v[47:48], v[13:14]
	s_waitcnt lgkmcnt(2)
	v_mul_f64 v[55:56], v[2:3], v[31:32]
	v_mul_f64 v[31:32], v[0:1], v[31:32]
	s_waitcnt lgkmcnt(0)
	v_mul_f64 v[47:48], v[35:36], v[39:40]
	v_add_f64 v[41:42], v[51:52], v[41:42]
	v_add_f64 v[43:44], v[53:54], v[49:50]
	v_mul_f64 v[49:50], v[33:34], v[39:40]
	v_fma_f64 v[51:52], v[0:1], v[29:30], -v[55:56]
	v_fma_f64 v[53:54], v[2:3], v[29:30], v[31:32]
	v_fma_f64 v[33:34], v[33:34], v[37:38], -v[47:48]
	v_add_f64 v[5:6], v[41:42], v[5:6]
	v_add_f64 v[13:14], v[43:44], v[13:14]
	ds_load_b128 v[0:3], v4 offset:3072
	ds_load_b128 v[29:32], v7 offset:96
	ds_load_b128 v[39:42], v4 offset:3584
	ds_load_b128 v[43:46], v7 offset:112
	v_fma_f64 v[35:36], v[35:36], v[37:38], v[49:50]
	v_add_nc_u32_e32 v4, 0x1000, v4
	s_waitcnt lgkmcnt(2)
	v_mul_f64 v[55:56], v[2:3], v[31:32]
	v_mul_f64 v[31:32], v[0:1], v[31:32]
	s_waitcnt lgkmcnt(0)
	v_mul_f64 v[37:38], v[41:42], v[45:46]
	v_mul_f64 v[45:46], v[39:40], v[45:46]
	v_add_f64 v[5:6], v[5:6], v[51:52]
	v_add_f64 v[13:14], v[13:14], v[53:54]
	v_fma_f64 v[0:1], v[0:1], v[29:30], -v[55:56]
	v_fma_f64 v[2:3], v[2:3], v[29:30], v[31:32]
	v_fma_f64 v[29:30], v[39:40], v[43:44], -v[37:38]
	v_fma_f64 v[31:32], v[41:42], v[43:44], v[45:46]
	v_add_f64 v[5:6], v[5:6], v[33:34]
	v_add_f64 v[13:14], v[13:14], v[35:36]
	s_delay_alu instid0(VALU_DEP_2) | instskip(NEXT) | instid1(VALU_DEP_2)
	v_add_f64 v[0:1], v[5:6], v[0:1]
	v_add_f64 v[2:3], v[13:14], v[2:3]
	s_delay_alu instid0(VALU_DEP_2) | instskip(NEXT) | instid1(VALU_DEP_2)
	v_add_f64 v[0:1], v[0:1], v[29:30]
	v_add_f64 v[2:3], v[2:3], v[31:32]
	s_cbranch_scc0 .LBB62_21
; %bb.22:                               ;   in Loop: Header=BB62_7 Depth=2
	global_load_b128 v[4:7], v[11:12], off
	v_mul_f64 v[13:14], s[6:7], v[2:3]
	v_mul_f64 v[29:30], s[6:7], v[0:1]
	s_delay_alu instid0(VALU_DEP_2) | instskip(NEXT) | instid1(VALU_DEP_2)
	v_fma_f64 v[0:1], s[4:5], v[0:1], -v[13:14]
	v_fma_f64 v[2:3], s[4:5], v[2:3], v[29:30]
	s_waitcnt vmcnt(0)
	s_delay_alu instid0(VALU_DEP_2) | instskip(NEXT) | instid1(VALU_DEP_2)
	v_add_f64 v[0:1], v[0:1], v[4:5]
	v_add_f64 v[2:3], v[2:3], v[6:7]
	global_store_b128 v[11:12], v[0:3], off
	s_branch .LBB62_6
.LBB62_23:
	s_endpgm
	.section	.rodata,"a",@progbits
	.p2align	6, 0x0
	.amdhsa_kernel _ZL24rocblas_symm_hemm_kernelILb1ELb0ELi32E19rocblas_complex_numIdEPKPKS1_PKPS1_EvbiiT2_T3_lllSA_lllT4_llli
		.amdhsa_group_segment_fixed_size 32768
		.amdhsa_private_segment_fixed_size 0
		.amdhsa_kernarg_size 392
		.amdhsa_user_sgpr_count 13
		.amdhsa_user_sgpr_dispatch_ptr 0
		.amdhsa_user_sgpr_queue_ptr 0
		.amdhsa_user_sgpr_kernarg_segment_ptr 1
		.amdhsa_user_sgpr_dispatch_id 0
		.amdhsa_user_sgpr_private_segment_size 0
		.amdhsa_wavefront_size32 1
		.amdhsa_uses_dynamic_stack 0
		.amdhsa_enable_private_segment 0
		.amdhsa_system_sgpr_workgroup_id_x 1
		.amdhsa_system_sgpr_workgroup_id_y 1
		.amdhsa_system_sgpr_workgroup_id_z 1
		.amdhsa_system_sgpr_workgroup_info 0
		.amdhsa_system_vgpr_workitem_id 1
		.amdhsa_next_free_vgpr 57
		.amdhsa_next_free_sgpr 30
		.amdhsa_reserve_vcc 1
		.amdhsa_float_round_mode_32 0
		.amdhsa_float_round_mode_16_64 0
		.amdhsa_float_denorm_mode_32 3
		.amdhsa_float_denorm_mode_16_64 3
		.amdhsa_dx10_clamp 1
		.amdhsa_ieee_mode 1
		.amdhsa_fp16_overflow 0
		.amdhsa_workgroup_processor_mode 1
		.amdhsa_memory_ordered 1
		.amdhsa_forward_progress 0
		.amdhsa_shared_vgpr_count 0
		.amdhsa_exception_fp_ieee_invalid_op 0
		.amdhsa_exception_fp_denorm_src 0
		.amdhsa_exception_fp_ieee_div_zero 0
		.amdhsa_exception_fp_ieee_overflow 0
		.amdhsa_exception_fp_ieee_underflow 0
		.amdhsa_exception_fp_ieee_inexact 0
		.amdhsa_exception_int_div_zero 0
	.end_amdhsa_kernel
	.section	.text._ZL24rocblas_symm_hemm_kernelILb1ELb0ELi32E19rocblas_complex_numIdEPKPKS1_PKPS1_EvbiiT2_T3_lllSA_lllT4_llli,"axG",@progbits,_ZL24rocblas_symm_hemm_kernelILb1ELb0ELi32E19rocblas_complex_numIdEPKPKS1_PKPS1_EvbiiT2_T3_lllSA_lllT4_llli,comdat
.Lfunc_end62:
	.size	_ZL24rocblas_symm_hemm_kernelILb1ELb0ELi32E19rocblas_complex_numIdEPKPKS1_PKPS1_EvbiiT2_T3_lllSA_lllT4_llli, .Lfunc_end62-_ZL24rocblas_symm_hemm_kernelILb1ELb0ELi32E19rocblas_complex_numIdEPKPKS1_PKPS1_EvbiiT2_T3_lllSA_lllT4_llli
                                        ; -- End function
	.section	.AMDGPU.csdata,"",@progbits
; Kernel info:
; codeLenInByte = 1824
; NumSgprs: 32
; NumVgprs: 57
; ScratchSize: 0
; MemoryBound: 1
; FloatMode: 240
; IeeeMode: 1
; LDSByteSize: 32768 bytes/workgroup (compile time only)
; SGPRBlocks: 3
; VGPRBlocks: 7
; NumSGPRsForWavesPerEU: 32
; NumVGPRsForWavesPerEU: 57
; Occupancy: 16
; WaveLimiterHint : 1
; COMPUTE_PGM_RSRC2:SCRATCH_EN: 0
; COMPUTE_PGM_RSRC2:USER_SGPR: 13
; COMPUTE_PGM_RSRC2:TRAP_HANDLER: 0
; COMPUTE_PGM_RSRC2:TGID_X_EN: 1
; COMPUTE_PGM_RSRC2:TGID_Y_EN: 1
; COMPUTE_PGM_RSRC2:TGID_Z_EN: 1
; COMPUTE_PGM_RSRC2:TIDIG_COMP_CNT: 1
	.section	.text._ZL24rocblas_symm_hemm_kernelILb1ELb1ELi32E19rocblas_complex_numIdEPKPKS1_PKPS1_EvbiiT2_T3_lllSA_lllT4_llli,"axG",@progbits,_ZL24rocblas_symm_hemm_kernelILb1ELb1ELi32E19rocblas_complex_numIdEPKPKS1_PKPS1_EvbiiT2_T3_lllSA_lllT4_llli,comdat
	.globl	_ZL24rocblas_symm_hemm_kernelILb1ELb1ELi32E19rocblas_complex_numIdEPKPKS1_PKPS1_EvbiiT2_T3_lllSA_lllT4_llli ; -- Begin function _ZL24rocblas_symm_hemm_kernelILb1ELb1ELi32E19rocblas_complex_numIdEPKPKS1_PKPS1_EvbiiT2_T3_lllSA_lllT4_llli
	.p2align	8
	.type	_ZL24rocblas_symm_hemm_kernelILb1ELb1ELi32E19rocblas_complex_numIdEPKPKS1_PKPS1_EvbiiT2_T3_lllSA_lllT4_llli,@function
_ZL24rocblas_symm_hemm_kernelILb1ELb1ELi32E19rocblas_complex_numIdEPKPKS1_PKPS1_EvbiiT2_T3_lllSA_lllT4_llli: ; @_ZL24rocblas_symm_hemm_kernelILb1ELb1ELi32E19rocblas_complex_numIdEPKPKS1_PKPS1_EvbiiT2_T3_lllSA_lllT4_llli
; %bb.0:
	s_load_b256 s[4:11], s[0:1], 0x10
	s_waitcnt lgkmcnt(0)
	v_cmp_eq_f64_e64 s3, s[4:5], 0
	v_cmp_eq_f64_e64 s12, s[6:7], 0
	s_delay_alu instid0(VALU_DEP_1) | instskip(NEXT) | instid1(SALU_CYCLE_1)
	s_and_b32 s3, s3, s12
	s_and_b32 vcc_lo, exec_lo, s3
	s_cbranch_vccnz .LBB63_23
; %bb.1:
	s_load_b128 s[16:19], s[0:1], 0x0
	s_mov_b32 s2, s15
	s_waitcnt lgkmcnt(0)
	s_add_i32 s3, s18, -1
	s_delay_alu instid0(SALU_CYCLE_1) | instskip(NEXT) | instid1(SALU_CYCLE_1)
	s_ashr_i32 s12, s3, 31
	s_lshr_b32 s12, s12, 27
	s_delay_alu instid0(SALU_CYCLE_1) | instskip(NEXT) | instid1(SALU_CYCLE_1)
	s_add_i32 s3, s3, s12
	s_ashr_i32 s15, s3, 5
	s_delay_alu instid0(SALU_CYCLE_1)
	s_cmp_gt_i32 s14, s15
	s_cbranch_scc1 .LBB63_23
; %bb.2:
	s_mov_b32 s3, 0
	v_and_b32_e32 v15, 0x3ff, v0
	s_lshl_b64 s[28:29], s[2:3], 3
	v_bfe_u32 v16, v0, 10, 10
	s_add_u32 s2, s8, s28
	s_addc_u32 s3, s9, s29
	s_lshl_b64 s[10:11], s[10:11], 4
	s_load_b64 s[8:9], s[2:3], 0x0
	s_clause 0x1
	s_load_b128 s[20:23], s[0:1], 0x40
	s_load_b128 s[24:27], s[0:1], 0x60
	v_lshl_add_u32 v0, s13, 5, v15
	v_lshlrev_b32_e32 v2, 4, v16
	v_lshlrev_b32_e32 v17, 9, v15
	s_delay_alu instid0(VALU_DEP_3) | instskip(NEXT) | instid1(VALU_DEP_3)
	v_ashrrev_i32_e32 v1, 31, v0
	v_or_b32_e32 v19, 0x4000, v2
	s_delay_alu instid0(VALU_DEP_3) | instskip(NEXT) | instid1(VALU_DEP_2)
	v_add_nc_u32_e32 v18, v17, v2
	v_add_nc_u32_e32 v20, v19, v17
	s_waitcnt lgkmcnt(0)
	s_add_u32 s3, s8, s10
	s_addc_u32 s19, s9, s11
	s_add_u32 s8, s20, s28
	s_addc_u32 s9, s21, s29
	;; [unrolled: 2-line block ×3, first 2 shown]
	s_bitcmp1_b32 s16, 0
	s_load_b64 s[24:25], s[10:11], 0x0
	s_load_b64 s[28:29], s[8:9], 0x0
	s_clause 0x3
	s_load_b64 s[8:9], s[0:1], 0x30
	s_load_b64 s[10:11], s[0:1], 0x50
	;; [unrolled: 1-line block ×3, first 2 shown]
	s_load_b32 s20, s[0:1], 0x8c
	v_cmp_gt_i32_e64 s0, s17, v0
	v_lshlrev_b64 v[0:1], 4, v[0:1]
	s_cselect_b32 s1, -1, 0
	s_lshl_b64 s[16:17], s[26:27], 4
	s_waitcnt lgkmcnt(0)
	s_add_u32 s2, s24, s16
	s_addc_u32 s21, s25, s17
	s_lshl_b64 s[16:17], s[22:23], 4
	v_add_co_u32 v21, vcc_lo, s2, v0
	s_add_u32 s16, s28, s16
	v_add_co_ci_u32_e32 v22, vcc_lo, s21, v1, vcc_lo
	s_addc_u32 s2, s29, s17
	v_add_co_u32 v23, vcc_lo, s16, v0
	v_add_co_ci_u32_e32 v24, vcc_lo, s2, v1, vcc_lo
	s_cmp_gt_i32 s18, 0
	s_cselect_b32 s16, -1, 0
	s_branch .LBB63_4
.LBB63_3:                               ;   in Loop: Header=BB63_4 Depth=1
	s_add_i32 s14, s14, s20
	s_delay_alu instid0(SALU_CYCLE_1)
	s_cmp_gt_i32 s14, s15
	s_cbranch_scc1 .LBB63_23
.LBB63_4:                               ; =>This Loop Header: Depth=1
                                        ;     Child Loop BB63_7 Depth 2
                                        ;       Child Loop BB63_21 Depth 3
	s_and_not1_b32 vcc_lo, exec_lo, s16
	s_cbranch_vccnz .LBB63_3
; %bb.5:                                ;   in Loop: Header=BB63_4 Depth=1
	v_lshl_add_u32 v8, s14, 5, v16
	s_mov_b32 s21, 0
	s_delay_alu instid0(VALU_DEP_1) | instskip(SKIP_3) | instid1(VALU_DEP_4)
	v_ashrrev_i32_e32 v9, 31, v8
	v_mul_lo_u32 v4, v8, s9
	v_mad_u64_u32 v[0:1], null, v8, s8, 0
	v_mul_lo_u32 v6, v8, s13
	v_mul_lo_u32 v5, v9, s8
	v_mad_u64_u32 v[2:3], null, v8, s12, 0
	v_mul_lo_u32 v7, v9, s12
	v_cmp_gt_i32_e32 vcc_lo, s18, v8
	s_delay_alu instid0(VALU_DEP_4) | instskip(SKIP_2) | instid1(VALU_DEP_4)
	v_add3_u32 v1, v1, v4, v5
	v_lshlrev_b64 v[4:5], 4, v[8:9]
	s_and_b32 s17, s0, vcc_lo
	v_add3_u32 v3, v3, v6, v7
	s_delay_alu instid0(VALU_DEP_3) | instskip(NEXT) | instid1(VALU_DEP_3)
	v_lshlrev_b64 v[0:1], 4, v[0:1]
	v_add_co_u32 v25, s2, s3, v4
	s_delay_alu instid0(VALU_DEP_3) | instskip(SKIP_1) | instid1(VALU_DEP_4)
	v_lshlrev_b64 v[2:3], 4, v[2:3]
	v_add_co_ci_u32_e64 v26, s2, s19, v5, s2
	v_add_co_u32 v27, s2, s3, v0
	s_delay_alu instid0(VALU_DEP_1) | instskip(NEXT) | instid1(VALU_DEP_4)
	v_add_co_ci_u32_e64 v28, s2, s19, v1, s2
	v_add_co_u32 v9, s2, v21, v2
	s_delay_alu instid0(VALU_DEP_1) | instskip(NEXT) | instid1(VALU_DEP_4)
	v_add_co_ci_u32_e64 v10, s2, v22, v3, s2
	v_add_co_u32 v11, s2, v27, v4
	s_delay_alu instid0(VALU_DEP_1)
	v_add_co_ci_u32_e64 v12, s2, v28, v5, s2
	s_branch .LBB63_7
.LBB63_6:                               ;   in Loop: Header=BB63_7 Depth=2
	s_or_b32 exec_lo, exec_lo, s2
	s_add_i32 s21, s21, 32
	s_waitcnt_vscnt null, 0x0
	s_cmp_ge_i32 s21, s18
	s_barrier
	buffer_gl0_inv
	s_cbranch_scc1 .LBB63_3
.LBB63_7:                               ;   Parent Loop BB63_4 Depth=1
                                        ; =>  This Loop Header: Depth=2
                                        ;       Child Loop BB63_21 Depth 3
	v_add_nc_u32_e32 v2, s21, v16
	v_mov_b32_e32 v0, 0
	v_mov_b32_e32 v1, 0
	s_delay_alu instid0(VALU_DEP_3) | instskip(NEXT) | instid1(VALU_DEP_2)
	v_cmp_gt_i32_e32 vcc_lo, s18, v2
	v_dual_mov_b32 v5, v1 :: v_dual_mov_b32 v4, v0
	v_dual_mov_b32 v7, v1 :: v_dual_mov_b32 v6, v0
	s_and_b32 s22, s0, vcc_lo
	s_delay_alu instid0(SALU_CYCLE_1)
	s_and_saveexec_b32 s2, s22
	s_cbranch_execz .LBB63_9
; %bb.8:                                ;   in Loop: Header=BB63_7 Depth=2
	v_ashrrev_i32_e32 v5, 31, v2
	v_mul_lo_u32 v6, v2, s11
	v_mad_u64_u32 v[3:4], null, v2, s10, 0
	s_delay_alu instid0(VALU_DEP_3) | instskip(NEXT) | instid1(VALU_DEP_1)
	v_mul_lo_u32 v2, v5, s10
	v_add3_u32 v4, v4, v6, v2
	s_delay_alu instid0(VALU_DEP_1) | instskip(NEXT) | instid1(VALU_DEP_1)
	v_lshlrev_b64 v[2:3], 4, v[3:4]
	v_add_co_u32 v2, vcc_lo, v23, v2
	s_delay_alu instid0(VALU_DEP_2)
	v_add_co_ci_u32_e32 v3, vcc_lo, v24, v3, vcc_lo
	global_load_b128 v[4:7], v[2:3], off
.LBB63_9:                               ;   in Loop: Header=BB63_7 Depth=2
	s_or_b32 exec_lo, exec_lo, s2
	v_add_nc_u32_e32 v13, s21, v15
	s_mov_b32 s22, exec_lo
	s_waitcnt vmcnt(0)
	ds_store_b128 v18, v[4:7]
	v_cndmask_b32_e64 v2, v8, v13, s1
	v_cndmask_b32_e64 v3, v13, v8, s1
	s_delay_alu instid0(VALU_DEP_1) | instskip(SKIP_3) | instid1(VALU_DEP_3)
	v_cmp_gt_i32_e32 vcc_lo, v2, v3
	v_dual_cndmask_b32 v14, v13, v8 :: v_dual_cndmask_b32 v29, v8, v13
	v_cmp_le_i32_e32 vcc_lo, v2, v3
	v_dual_mov_b32 v3, v1 :: v_dual_mov_b32 v2, v0
	v_max_i32_e32 v14, v14, v29
	s_delay_alu instid0(VALU_DEP_1)
	v_cmpx_gt_i32_e64 s18, v14
	s_cbranch_execz .LBB63_19
; %bb.10:                               ;   in Loop: Header=BB63_7 Depth=2
                                        ; implicit-def: $vgpr2_vgpr3
	s_and_saveexec_b32 s2, vcc_lo
	s_delay_alu instid0(SALU_CYCLE_1)
	s_xor_b32 s2, exec_lo, s2
	s_cbranch_execz .LBB63_16
; %bb.11:                               ;   in Loop: Header=BB63_7 Depth=2
	s_mov_b32 s23, exec_lo
                                        ; implicit-def: $vgpr2_vgpr3
	v_cmpx_ne_u32_e64 v13, v8
	s_xor_b32 s23, exec_lo, s23
	s_cbranch_execz .LBB63_13
; %bb.12:                               ;   in Loop: Header=BB63_7 Depth=2
	v_ashrrev_i32_e32 v14, 31, v13
	s_delay_alu instid0(VALU_DEP_1) | instskip(NEXT) | instid1(VALU_DEP_1)
	v_lshlrev_b64 v[0:1], 4, v[13:14]
	v_add_co_u32 v0, vcc_lo, v27, v0
	s_delay_alu instid0(VALU_DEP_2)
	v_add_co_ci_u32_e32 v1, vcc_lo, v28, v1, vcc_lo
	global_load_b128 v[0:3], v[0:1], off
.LBB63_13:                              ;   in Loop: Header=BB63_7 Depth=2
	s_and_not1_saveexec_b32 s23, s23
	s_cbranch_execz .LBB63_15
; %bb.14:                               ;   in Loop: Header=BB63_7 Depth=2
	global_load_b64 v[0:1], v[11:12], off
	s_waitcnt vmcnt(1)
	v_mov_b32_e32 v2, 0
	v_mov_b32_e32 v3, 0
.LBB63_15:                              ;   in Loop: Header=BB63_7 Depth=2
	s_or_b32 exec_lo, exec_lo, s23
                                        ; implicit-def: $vgpr13
.LBB63_16:                              ;   in Loop: Header=BB63_7 Depth=2
	s_and_not1_saveexec_b32 s2, s2
	s_cbranch_execz .LBB63_18
; %bb.17:                               ;   in Loop: Header=BB63_7 Depth=2
	s_waitcnt vmcnt(0)
	v_ashrrev_i32_e32 v2, 31, v13
	v_mul_lo_u32 v3, v13, s9
	v_mad_u64_u32 v[0:1], null, v13, s8, 0
	s_delay_alu instid0(VALU_DEP_3) | instskip(NEXT) | instid1(VALU_DEP_1)
	v_mul_lo_u32 v2, v2, s8
	v_add3_u32 v1, v1, v3, v2
	s_delay_alu instid0(VALU_DEP_1) | instskip(NEXT) | instid1(VALU_DEP_1)
	v_lshlrev_b64 v[0:1], 4, v[0:1]
	v_add_co_u32 v0, vcc_lo, v25, v0
	s_delay_alu instid0(VALU_DEP_2)
	v_add_co_ci_u32_e32 v1, vcc_lo, v26, v1, vcc_lo
	global_load_b128 v[0:3], v[0:1], off
	s_waitcnt vmcnt(0)
	v_xor_b32_e32 v3, 0x80000000, v3
.LBB63_18:                              ;   in Loop: Header=BB63_7 Depth=2
	s_or_b32 exec_lo, exec_lo, s2
.LBB63_19:                              ;   in Loop: Header=BB63_7 Depth=2
	s_delay_alu instid0(SALU_CYCLE_1)
	s_or_b32 exec_lo, exec_lo, s22
	s_waitcnt vmcnt(0)
	ds_store_b128 v20, v[0:3]
	s_waitcnt lgkmcnt(0)
	s_barrier
	buffer_gl0_inv
	s_and_saveexec_b32 s2, s17
	s_cbranch_execz .LBB63_6
; %bb.20:                               ;   in Loop: Header=BB63_7 Depth=2
	v_mov_b32_e32 v0, 0
	v_dual_mov_b32 v1, 0 :: v_dual_mov_b32 v4, v19
	s_mov_b32 s22, 0
	s_delay_alu instid0(VALU_DEP_1)
	v_dual_mov_b32 v3, v1 :: v_dual_mov_b32 v2, v0
.LBB63_21:                              ;   Parent Loop BB63_4 Depth=1
                                        ;     Parent Loop BB63_7 Depth=2
                                        ; =>    This Inner Loop Header: Depth=3
	v_add_nc_u32_e32 v7, s22, v17
	s_addk_i32 s22, 0x80
	ds_load_b128 v[29:32], v4
	ds_load_b128 v[33:36], v7
	ds_load_b128 v[37:40], v4 offset:512
	ds_load_b128 v[41:44], v7 offset:16
	s_cmpk_eq_i32 s22, 0x200
	s_waitcnt lgkmcnt(2)
	v_mul_f64 v[5:6], v[31:32], v[35:36]
	v_mul_f64 v[13:14], v[29:30], v[35:36]
	s_waitcnt lgkmcnt(0)
	v_mul_f64 v[51:52], v[39:40], v[43:44]
	v_mul_f64 v[53:54], v[37:38], v[43:44]
	s_delay_alu instid0(VALU_DEP_4) | instskip(NEXT) | instid1(VALU_DEP_4)
	v_fma_f64 v[5:6], v[29:30], v[33:34], -v[5:6]
	v_fma_f64 v[13:14], v[31:32], v[33:34], v[13:14]
	ds_load_b128 v[29:32], v4 offset:1024
	ds_load_b128 v[33:36], v7 offset:32
	;; [unrolled: 1-line block ×4, first 2 shown]
	v_fma_f64 v[37:38], v[37:38], v[41:42], -v[51:52]
	v_fma_f64 v[39:40], v[39:40], v[41:42], v[53:54]
	s_waitcnt lgkmcnt(2)
	v_mul_f64 v[55:56], v[31:32], v[35:36]
	v_mul_f64 v[35:36], v[29:30], v[35:36]
	v_add_f64 v[0:1], v[0:1], v[5:6]
	v_add_f64 v[2:3], v[2:3], v[13:14]
	s_waitcnt lgkmcnt(0)
	v_mul_f64 v[5:6], v[45:46], v[49:50]
	v_mul_f64 v[13:14], v[43:44], v[49:50]
	v_fma_f64 v[41:42], v[29:30], v[33:34], -v[55:56]
	v_fma_f64 v[49:50], v[31:32], v[33:34], v[35:36]
	v_add_f64 v[51:52], v[0:1], v[37:38]
	v_add_f64 v[53:54], v[2:3], v[39:40]
	ds_load_b128 v[0:3], v4 offset:2048
	ds_load_b128 v[29:32], v7 offset:64
	;; [unrolled: 1-line block ×4, first 2 shown]
	v_fma_f64 v[5:6], v[43:44], v[47:48], -v[5:6]
	v_fma_f64 v[13:14], v[45:46], v[47:48], v[13:14]
	s_waitcnt lgkmcnt(2)
	v_mul_f64 v[55:56], v[2:3], v[31:32]
	v_mul_f64 v[31:32], v[0:1], v[31:32]
	s_waitcnt lgkmcnt(0)
	v_mul_f64 v[47:48], v[35:36], v[39:40]
	v_add_f64 v[41:42], v[51:52], v[41:42]
	v_add_f64 v[43:44], v[53:54], v[49:50]
	v_mul_f64 v[49:50], v[33:34], v[39:40]
	v_fma_f64 v[51:52], v[0:1], v[29:30], -v[55:56]
	v_fma_f64 v[53:54], v[2:3], v[29:30], v[31:32]
	v_fma_f64 v[33:34], v[33:34], v[37:38], -v[47:48]
	v_add_f64 v[5:6], v[41:42], v[5:6]
	v_add_f64 v[13:14], v[43:44], v[13:14]
	ds_load_b128 v[0:3], v4 offset:3072
	ds_load_b128 v[29:32], v7 offset:96
	;; [unrolled: 1-line block ×4, first 2 shown]
	v_fma_f64 v[35:36], v[35:36], v[37:38], v[49:50]
	v_add_nc_u32_e32 v4, 0x1000, v4
	s_waitcnt lgkmcnt(2)
	v_mul_f64 v[55:56], v[2:3], v[31:32]
	v_mul_f64 v[31:32], v[0:1], v[31:32]
	s_waitcnt lgkmcnt(0)
	v_mul_f64 v[37:38], v[41:42], v[45:46]
	v_mul_f64 v[45:46], v[39:40], v[45:46]
	v_add_f64 v[5:6], v[5:6], v[51:52]
	v_add_f64 v[13:14], v[13:14], v[53:54]
	v_fma_f64 v[0:1], v[0:1], v[29:30], -v[55:56]
	v_fma_f64 v[2:3], v[2:3], v[29:30], v[31:32]
	v_fma_f64 v[29:30], v[39:40], v[43:44], -v[37:38]
	v_fma_f64 v[31:32], v[41:42], v[43:44], v[45:46]
	v_add_f64 v[5:6], v[5:6], v[33:34]
	v_add_f64 v[13:14], v[13:14], v[35:36]
	s_delay_alu instid0(VALU_DEP_2) | instskip(NEXT) | instid1(VALU_DEP_2)
	v_add_f64 v[0:1], v[5:6], v[0:1]
	v_add_f64 v[2:3], v[13:14], v[2:3]
	s_delay_alu instid0(VALU_DEP_2) | instskip(NEXT) | instid1(VALU_DEP_2)
	v_add_f64 v[0:1], v[0:1], v[29:30]
	v_add_f64 v[2:3], v[2:3], v[31:32]
	s_cbranch_scc0 .LBB63_21
; %bb.22:                               ;   in Loop: Header=BB63_7 Depth=2
	global_load_b128 v[4:7], v[9:10], off
	v_mul_f64 v[13:14], s[6:7], v[2:3]
	v_mul_f64 v[29:30], s[6:7], v[0:1]
	s_delay_alu instid0(VALU_DEP_2) | instskip(NEXT) | instid1(VALU_DEP_2)
	v_fma_f64 v[0:1], s[4:5], v[0:1], -v[13:14]
	v_fma_f64 v[2:3], s[4:5], v[2:3], v[29:30]
	s_waitcnt vmcnt(0)
	s_delay_alu instid0(VALU_DEP_2) | instskip(NEXT) | instid1(VALU_DEP_2)
	v_add_f64 v[0:1], v[0:1], v[4:5]
	v_add_f64 v[2:3], v[2:3], v[6:7]
	global_store_b128 v[9:10], v[0:3], off
	s_branch .LBB63_6
.LBB63_23:
	s_endpgm
	.section	.rodata,"a",@progbits
	.p2align	6, 0x0
	.amdhsa_kernel _ZL24rocblas_symm_hemm_kernelILb1ELb1ELi32E19rocblas_complex_numIdEPKPKS1_PKPS1_EvbiiT2_T3_lllSA_lllT4_llli
		.amdhsa_group_segment_fixed_size 32768
		.amdhsa_private_segment_fixed_size 0
		.amdhsa_kernarg_size 392
		.amdhsa_user_sgpr_count 13
		.amdhsa_user_sgpr_dispatch_ptr 0
		.amdhsa_user_sgpr_queue_ptr 0
		.amdhsa_user_sgpr_kernarg_segment_ptr 1
		.amdhsa_user_sgpr_dispatch_id 0
		.amdhsa_user_sgpr_private_segment_size 0
		.amdhsa_wavefront_size32 1
		.amdhsa_uses_dynamic_stack 0
		.amdhsa_enable_private_segment 0
		.amdhsa_system_sgpr_workgroup_id_x 1
		.amdhsa_system_sgpr_workgroup_id_y 1
		.amdhsa_system_sgpr_workgroup_id_z 1
		.amdhsa_system_sgpr_workgroup_info 0
		.amdhsa_system_vgpr_workitem_id 1
		.amdhsa_next_free_vgpr 57
		.amdhsa_next_free_sgpr 30
		.amdhsa_reserve_vcc 1
		.amdhsa_float_round_mode_32 0
		.amdhsa_float_round_mode_16_64 0
		.amdhsa_float_denorm_mode_32 3
		.amdhsa_float_denorm_mode_16_64 3
		.amdhsa_dx10_clamp 1
		.amdhsa_ieee_mode 1
		.amdhsa_fp16_overflow 0
		.amdhsa_workgroup_processor_mode 1
		.amdhsa_memory_ordered 1
		.amdhsa_forward_progress 0
		.amdhsa_shared_vgpr_count 0
		.amdhsa_exception_fp_ieee_invalid_op 0
		.amdhsa_exception_fp_denorm_src 0
		.amdhsa_exception_fp_ieee_div_zero 0
		.amdhsa_exception_fp_ieee_overflow 0
		.amdhsa_exception_fp_ieee_underflow 0
		.amdhsa_exception_fp_ieee_inexact 0
		.amdhsa_exception_int_div_zero 0
	.end_amdhsa_kernel
	.section	.text._ZL24rocblas_symm_hemm_kernelILb1ELb1ELi32E19rocblas_complex_numIdEPKPKS1_PKPS1_EvbiiT2_T3_lllSA_lllT4_llli,"axG",@progbits,_ZL24rocblas_symm_hemm_kernelILb1ELb1ELi32E19rocblas_complex_numIdEPKPKS1_PKPS1_EvbiiT2_T3_lllSA_lllT4_llli,comdat
.Lfunc_end63:
	.size	_ZL24rocblas_symm_hemm_kernelILb1ELb1ELi32E19rocblas_complex_numIdEPKPKS1_PKPS1_EvbiiT2_T3_lllSA_lllT4_llli, .Lfunc_end63-_ZL24rocblas_symm_hemm_kernelILb1ELb1ELi32E19rocblas_complex_numIdEPKPKS1_PKPS1_EvbiiT2_T3_lllSA_lllT4_llli
                                        ; -- End function
	.section	.AMDGPU.csdata,"",@progbits
; Kernel info:
; codeLenInByte = 1804
; NumSgprs: 32
; NumVgprs: 57
; ScratchSize: 0
; MemoryBound: 1
; FloatMode: 240
; IeeeMode: 1
; LDSByteSize: 32768 bytes/workgroup (compile time only)
; SGPRBlocks: 3
; VGPRBlocks: 7
; NumSGPRsForWavesPerEU: 32
; NumVGPRsForWavesPerEU: 57
; Occupancy: 16
; WaveLimiterHint : 1
; COMPUTE_PGM_RSRC2:SCRATCH_EN: 0
; COMPUTE_PGM_RSRC2:USER_SGPR: 13
; COMPUTE_PGM_RSRC2:TRAP_HANDLER: 0
; COMPUTE_PGM_RSRC2:TGID_X_EN: 1
; COMPUTE_PGM_RSRC2:TGID_Y_EN: 1
; COMPUTE_PGM_RSRC2:TGID_Z_EN: 1
; COMPUTE_PGM_RSRC2:TIDIG_COMP_CNT: 1
	.text
	.p2alignl 7, 3214868480
	.fill 96, 4, 3214868480
	.type	__hip_cuid_3a73f23069c9c75f,@object ; @__hip_cuid_3a73f23069c9c75f
	.section	.bss,"aw",@nobits
	.globl	__hip_cuid_3a73f23069c9c75f
__hip_cuid_3a73f23069c9c75f:
	.byte	0                               ; 0x0
	.size	__hip_cuid_3a73f23069c9c75f, 1

	.ident	"AMD clang version 19.0.0git (https://github.com/RadeonOpenCompute/llvm-project roc-6.4.0 25133 c7fe45cf4b819c5991fe208aaa96edf142730f1d)"
	.section	".note.GNU-stack","",@progbits
	.addrsig
	.addrsig_sym __hip_cuid_3a73f23069c9c75f
	.amdgpu_metadata
---
amdhsa.kernels:
  - .args:
      - .offset:         0
        .size:           4
        .value_kind:     by_value
      - .offset:         4
        .size:           4
        .value_kind:     by_value
      - .address_space:  global
        .offset:         8
        .size:           8
        .value_kind:     global_buffer
      - .address_space:  global
        .offset:         16
        .size:           8
        .value_kind:     global_buffer
      - .offset:         24
        .size:           8
        .value_kind:     by_value
      - .offset:         32
        .size:           8
        .value_kind:     by_value
      - .offset:         40
        .size:           8
        .value_kind:     by_value
      - .offset:         48
        .size:           4
        .value_kind:     by_value
      - .offset:         56
        .size:           4
        .value_kind:     hidden_block_count_x
      - .offset:         60
        .size:           4
        .value_kind:     hidden_block_count_y
      - .offset:         64
        .size:           4
        .value_kind:     hidden_block_count_z
      - .offset:         68
        .size:           2
        .value_kind:     hidden_group_size_x
      - .offset:         70
        .size:           2
        .value_kind:     hidden_group_size_y
      - .offset:         72
        .size:           2
        .value_kind:     hidden_group_size_z
      - .offset:         74
        .size:           2
        .value_kind:     hidden_remainder_x
      - .offset:         76
        .size:           2
        .value_kind:     hidden_remainder_y
      - .offset:         78
        .size:           2
        .value_kind:     hidden_remainder_z
      - .offset:         96
        .size:           8
        .value_kind:     hidden_global_offset_x
      - .offset:         104
        .size:           8
        .value_kind:     hidden_global_offset_y
      - .offset:         112
        .size:           8
        .value_kind:     hidden_global_offset_z
      - .offset:         120
        .size:           2
        .value_kind:     hidden_grid_dims
    .group_segment_fixed_size: 0
    .kernarg_segment_align: 8
    .kernarg_segment_size: 312
    .language:       OpenCL C
    .language_version:
      - 2
      - 0
    .max_flat_workgroup_size: 1024
    .name:           _ZL25rocblas_symm_scale_kernelILi128ELi8EPKfPfEviiT1_T2_llli
    .private_segment_fixed_size: 0
    .sgpr_count:     18
    .sgpr_spill_count: 0
    .symbol:         _ZL25rocblas_symm_scale_kernelILi128ELi8EPKfPfEviiT1_T2_llli.kd
    .uniform_work_group_size: 1
    .uses_dynamic_stack: false
    .vgpr_count:     7
    .vgpr_spill_count: 0
    .wavefront_size: 32
    .workgroup_processor_mode: 1
  - .args:
      - .offset:         0
        .size:           1
        .value_kind:     by_value
      - .offset:         4
        .size:           4
        .value_kind:     by_value
      - .offset:         8
        .size:           4
        .value_kind:     by_value
      - .address_space:  global
        .offset:         16
        .size:           8
        .value_kind:     global_buffer
      - .address_space:  global
        .offset:         24
        .size:           8
        .value_kind:     global_buffer
      - .offset:         32
        .size:           8
        .value_kind:     by_value
      - .offset:         40
        .size:           8
        .value_kind:     by_value
      - .offset:         48
        .size:           8
        .value_kind:     by_value
      - .address_space:  global
        .offset:         56
        .size:           8
        .value_kind:     global_buffer
      - .offset:         64
        .size:           8
        .value_kind:     by_value
      - .offset:         72
        .size:           8
        .value_kind:     by_value
      - .offset:         80
        .size:           8
        .value_kind:     by_value
      - .address_space:  global
        .offset:         88
        .size:           8
        .value_kind:     global_buffer
      - .offset:         96
        .size:           8
        .value_kind:     by_value
      - .offset:         104
        .size:           8
        .value_kind:     by_value
      - .offset:         112
        .size:           8
        .value_kind:     by_value
      - .offset:         120
        .size:           4
        .value_kind:     by_value
      - .offset:         128
        .size:           4
        .value_kind:     hidden_block_count_x
      - .offset:         132
        .size:           4
        .value_kind:     hidden_block_count_y
      - .offset:         136
        .size:           4
        .value_kind:     hidden_block_count_z
      - .offset:         140
        .size:           2
        .value_kind:     hidden_group_size_x
      - .offset:         142
        .size:           2
        .value_kind:     hidden_group_size_y
      - .offset:         144
        .size:           2
        .value_kind:     hidden_group_size_z
      - .offset:         146
        .size:           2
        .value_kind:     hidden_remainder_x
      - .offset:         148
        .size:           2
        .value_kind:     hidden_remainder_y
      - .offset:         150
        .size:           2
        .value_kind:     hidden_remainder_z
      - .offset:         168
        .size:           8
        .value_kind:     hidden_global_offset_x
      - .offset:         176
        .size:           8
        .value_kind:     hidden_global_offset_y
      - .offset:         184
        .size:           8
        .value_kind:     hidden_global_offset_z
      - .offset:         192
        .size:           2
        .value_kind:     hidden_grid_dims
    .group_segment_fixed_size: 8192
    .kernarg_segment_align: 8
    .kernarg_segment_size: 384
    .language:       OpenCL C
    .language_version:
      - 2
      - 0
    .max_flat_workgroup_size: 1024
    .name:           _ZL24rocblas_symm_hemm_kernelILb0ELb0ELi32EPKfS1_PfEvbiiT2_T3_lllS4_lllT4_llli
    .private_segment_fixed_size: 0
    .sgpr_count:     42
    .sgpr_spill_count: 0
    .symbol:         _ZL24rocblas_symm_hemm_kernelILb0ELb0ELi32EPKfS1_PfEvbiiT2_T3_lllS4_lllT4_llli.kd
    .uniform_work_group_size: 1
    .uses_dynamic_stack: false
    .vgpr_count:     32
    .vgpr_spill_count: 0
    .wavefront_size: 32
    .workgroup_processor_mode: 1
  - .args:
      - .offset:         0
        .size:           1
        .value_kind:     by_value
      - .offset:         4
        .size:           4
        .value_kind:     by_value
      - .offset:         8
        .size:           4
        .value_kind:     by_value
      - .address_space:  global
        .offset:         16
        .size:           8
        .value_kind:     global_buffer
      - .address_space:  global
        .offset:         24
        .size:           8
        .value_kind:     global_buffer
      - .offset:         32
        .size:           8
        .value_kind:     by_value
      - .offset:         40
        .size:           8
        .value_kind:     by_value
      - .offset:         48
        .size:           8
        .value_kind:     by_value
      - .address_space:  global
        .offset:         56
        .size:           8
        .value_kind:     global_buffer
      - .offset:         64
        .size:           8
        .value_kind:     by_value
      - .offset:         72
        .size:           8
        .value_kind:     by_value
      - .offset:         80
        .size:           8
        .value_kind:     by_value
      - .address_space:  global
        .offset:         88
        .size:           8
        .value_kind:     global_buffer
      - .offset:         96
        .size:           8
        .value_kind:     by_value
      - .offset:         104
        .size:           8
        .value_kind:     by_value
      - .offset:         112
        .size:           8
        .value_kind:     by_value
      - .offset:         120
        .size:           4
        .value_kind:     by_value
      - .offset:         128
        .size:           4
        .value_kind:     hidden_block_count_x
      - .offset:         132
        .size:           4
        .value_kind:     hidden_block_count_y
      - .offset:         136
        .size:           4
        .value_kind:     hidden_block_count_z
      - .offset:         140
        .size:           2
        .value_kind:     hidden_group_size_x
      - .offset:         142
        .size:           2
        .value_kind:     hidden_group_size_y
      - .offset:         144
        .size:           2
        .value_kind:     hidden_group_size_z
      - .offset:         146
        .size:           2
        .value_kind:     hidden_remainder_x
      - .offset:         148
        .size:           2
        .value_kind:     hidden_remainder_y
      - .offset:         150
        .size:           2
        .value_kind:     hidden_remainder_z
      - .offset:         168
        .size:           8
        .value_kind:     hidden_global_offset_x
      - .offset:         176
        .size:           8
        .value_kind:     hidden_global_offset_y
      - .offset:         184
        .size:           8
        .value_kind:     hidden_global_offset_z
      - .offset:         192
        .size:           2
        .value_kind:     hidden_grid_dims
    .group_segment_fixed_size: 8192
    .kernarg_segment_align: 8
    .kernarg_segment_size: 384
    .language:       OpenCL C
    .language_version:
      - 2
      - 0
    .max_flat_workgroup_size: 1024
    .name:           _ZL24rocblas_symm_hemm_kernelILb0ELb1ELi32EPKfS1_PfEvbiiT2_T3_lllS4_lllT4_llli
    .private_segment_fixed_size: 0
    .sgpr_count:     42
    .sgpr_spill_count: 0
    .symbol:         _ZL24rocblas_symm_hemm_kernelILb0ELb1ELi32EPKfS1_PfEvbiiT2_T3_lllS4_lllT4_llli.kd
    .uniform_work_group_size: 1
    .uses_dynamic_stack: false
    .vgpr_count:     32
    .vgpr_spill_count: 0
    .wavefront_size: 32
    .workgroup_processor_mode: 1
  - .args:
      - .offset:         0
        .size:           4
        .value_kind:     by_value
      - .offset:         4
        .size:           4
        .value_kind:     by_value
      - .offset:         8
        .size:           4
        .value_kind:     by_value
      - .address_space:  global
        .offset:         16
        .size:           8
        .value_kind:     global_buffer
      - .offset:         24
        .size:           8
        .value_kind:     by_value
      - .offset:         32
        .size:           8
        .value_kind:     by_value
      - .offset:         40
        .size:           8
        .value_kind:     by_value
      - .offset:         48
        .size:           4
        .value_kind:     by_value
      - .offset:         56
        .size:           4
        .value_kind:     hidden_block_count_x
      - .offset:         60
        .size:           4
        .value_kind:     hidden_block_count_y
      - .offset:         64
        .size:           4
        .value_kind:     hidden_block_count_z
      - .offset:         68
        .size:           2
        .value_kind:     hidden_group_size_x
      - .offset:         70
        .size:           2
        .value_kind:     hidden_group_size_y
      - .offset:         72
        .size:           2
        .value_kind:     hidden_group_size_z
      - .offset:         74
        .size:           2
        .value_kind:     hidden_remainder_x
      - .offset:         76
        .size:           2
        .value_kind:     hidden_remainder_y
      - .offset:         78
        .size:           2
        .value_kind:     hidden_remainder_z
      - .offset:         96
        .size:           8
        .value_kind:     hidden_global_offset_x
      - .offset:         104
        .size:           8
        .value_kind:     hidden_global_offset_y
      - .offset:         112
        .size:           8
        .value_kind:     hidden_global_offset_z
      - .offset:         120
        .size:           2
        .value_kind:     hidden_grid_dims
    .group_segment_fixed_size: 0
    .kernarg_segment_align: 8
    .kernarg_segment_size: 312
    .language:       OpenCL C
    .language_version:
      - 2
      - 0
    .max_flat_workgroup_size: 1024
    .name:           _ZL25rocblas_symm_scale_kernelILi128ELi8EfPfEviiT1_T2_llli
    .private_segment_fixed_size: 0
    .sgpr_count:     22
    .sgpr_spill_count: 0
    .symbol:         _ZL25rocblas_symm_scale_kernelILi128ELi8EfPfEviiT1_T2_llli.kd
    .uniform_work_group_size: 1
    .uses_dynamic_stack: false
    .vgpr_count:     8
    .vgpr_spill_count: 0
    .wavefront_size: 32
    .workgroup_processor_mode: 1
  - .args:
      - .offset:         0
        .size:           1
        .value_kind:     by_value
      - .offset:         4
        .size:           4
        .value_kind:     by_value
      - .offset:         8
        .size:           4
        .value_kind:     by_value
      - .offset:         12
        .size:           4
        .value_kind:     by_value
      - .address_space:  global
        .offset:         16
        .size:           8
        .value_kind:     global_buffer
      - .offset:         24
        .size:           8
        .value_kind:     by_value
      - .offset:         32
        .size:           8
        .value_kind:     by_value
      - .offset:         40
        .size:           8
        .value_kind:     by_value
      - .address_space:  global
        .offset:         48
        .size:           8
        .value_kind:     global_buffer
      - .offset:         56
        .size:           8
        .value_kind:     by_value
      - .offset:         64
        .size:           8
        .value_kind:     by_value
      - .offset:         72
        .size:           8
        .value_kind:     by_value
      - .address_space:  global
        .offset:         80
        .size:           8
        .value_kind:     global_buffer
      - .offset:         88
        .size:           8
        .value_kind:     by_value
      - .offset:         96
        .size:           8
        .value_kind:     by_value
      - .offset:         104
        .size:           8
        .value_kind:     by_value
      - .offset:         112
        .size:           4
        .value_kind:     by_value
      - .offset:         120
        .size:           4
        .value_kind:     hidden_block_count_x
      - .offset:         124
        .size:           4
        .value_kind:     hidden_block_count_y
      - .offset:         128
        .size:           4
        .value_kind:     hidden_block_count_z
      - .offset:         132
        .size:           2
        .value_kind:     hidden_group_size_x
      - .offset:         134
        .size:           2
        .value_kind:     hidden_group_size_y
      - .offset:         136
        .size:           2
        .value_kind:     hidden_group_size_z
      - .offset:         138
        .size:           2
        .value_kind:     hidden_remainder_x
      - .offset:         140
        .size:           2
        .value_kind:     hidden_remainder_y
      - .offset:         142
        .size:           2
        .value_kind:     hidden_remainder_z
      - .offset:         160
        .size:           8
        .value_kind:     hidden_global_offset_x
      - .offset:         168
        .size:           8
        .value_kind:     hidden_global_offset_y
      - .offset:         176
        .size:           8
        .value_kind:     hidden_global_offset_z
      - .offset:         184
        .size:           2
        .value_kind:     hidden_grid_dims
    .group_segment_fixed_size: 8192
    .kernarg_segment_align: 8
    .kernarg_segment_size: 376
    .language:       OpenCL C
    .language_version:
      - 2
      - 0
    .max_flat_workgroup_size: 1024
    .name:           _ZL24rocblas_symm_hemm_kernelILb0ELb0ELi32EfPKfPfEvbiiT2_T3_lllS4_lllT4_llli
    .private_segment_fixed_size: 0
    .sgpr_count:     42
    .sgpr_spill_count: 0
    .symbol:         _ZL24rocblas_symm_hemm_kernelILb0ELb0ELi32EfPKfPfEvbiiT2_T3_lllS4_lllT4_llli.kd
    .uniform_work_group_size: 1
    .uses_dynamic_stack: false
    .vgpr_count:     32
    .vgpr_spill_count: 0
    .wavefront_size: 32
    .workgroup_processor_mode: 1
  - .args:
      - .offset:         0
        .size:           1
        .value_kind:     by_value
      - .offset:         4
        .size:           4
        .value_kind:     by_value
      - .offset:         8
        .size:           4
        .value_kind:     by_value
      - .offset:         12
        .size:           4
        .value_kind:     by_value
      - .address_space:  global
        .offset:         16
        .size:           8
        .value_kind:     global_buffer
      - .offset:         24
        .size:           8
        .value_kind:     by_value
      - .offset:         32
        .size:           8
        .value_kind:     by_value
      - .offset:         40
        .size:           8
        .value_kind:     by_value
      - .address_space:  global
        .offset:         48
        .size:           8
        .value_kind:     global_buffer
      - .offset:         56
        .size:           8
        .value_kind:     by_value
      - .offset:         64
        .size:           8
        .value_kind:     by_value
      - .offset:         72
        .size:           8
        .value_kind:     by_value
      - .address_space:  global
        .offset:         80
        .size:           8
        .value_kind:     global_buffer
      - .offset:         88
        .size:           8
        .value_kind:     by_value
      - .offset:         96
        .size:           8
        .value_kind:     by_value
      - .offset:         104
        .size:           8
        .value_kind:     by_value
      - .offset:         112
        .size:           4
        .value_kind:     by_value
      - .offset:         120
        .size:           4
        .value_kind:     hidden_block_count_x
      - .offset:         124
        .size:           4
        .value_kind:     hidden_block_count_y
      - .offset:         128
        .size:           4
        .value_kind:     hidden_block_count_z
      - .offset:         132
        .size:           2
        .value_kind:     hidden_group_size_x
      - .offset:         134
        .size:           2
        .value_kind:     hidden_group_size_y
      - .offset:         136
        .size:           2
        .value_kind:     hidden_group_size_z
      - .offset:         138
        .size:           2
        .value_kind:     hidden_remainder_x
      - .offset:         140
        .size:           2
        .value_kind:     hidden_remainder_y
      - .offset:         142
        .size:           2
        .value_kind:     hidden_remainder_z
      - .offset:         160
        .size:           8
        .value_kind:     hidden_global_offset_x
      - .offset:         168
        .size:           8
        .value_kind:     hidden_global_offset_y
      - .offset:         176
        .size:           8
        .value_kind:     hidden_global_offset_z
      - .offset:         184
        .size:           2
        .value_kind:     hidden_grid_dims
    .group_segment_fixed_size: 8192
    .kernarg_segment_align: 8
    .kernarg_segment_size: 376
    .language:       OpenCL C
    .language_version:
      - 2
      - 0
    .max_flat_workgroup_size: 1024
    .name:           _ZL24rocblas_symm_hemm_kernelILb0ELb1ELi32EfPKfPfEvbiiT2_T3_lllS4_lllT4_llli
    .private_segment_fixed_size: 0
    .sgpr_count:     42
    .sgpr_spill_count: 0
    .symbol:         _ZL24rocblas_symm_hemm_kernelILb0ELb1ELi32EfPKfPfEvbiiT2_T3_lllS4_lllT4_llli.kd
    .uniform_work_group_size: 1
    .uses_dynamic_stack: false
    .vgpr_count:     32
    .vgpr_spill_count: 0
    .wavefront_size: 32
    .workgroup_processor_mode: 1
  - .args:
      - .offset:         0
        .size:           4
        .value_kind:     by_value
      - .offset:         4
        .size:           4
        .value_kind:     by_value
      - .address_space:  global
        .offset:         8
        .size:           8
        .value_kind:     global_buffer
      - .address_space:  global
        .offset:         16
        .size:           8
        .value_kind:     global_buffer
      - .offset:         24
        .size:           8
        .value_kind:     by_value
      - .offset:         32
        .size:           8
        .value_kind:     by_value
      - .offset:         40
        .size:           8
        .value_kind:     by_value
      - .offset:         48
        .size:           4
        .value_kind:     by_value
      - .offset:         56
        .size:           4
        .value_kind:     hidden_block_count_x
      - .offset:         60
        .size:           4
        .value_kind:     hidden_block_count_y
      - .offset:         64
        .size:           4
        .value_kind:     hidden_block_count_z
      - .offset:         68
        .size:           2
        .value_kind:     hidden_group_size_x
      - .offset:         70
        .size:           2
        .value_kind:     hidden_group_size_y
      - .offset:         72
        .size:           2
        .value_kind:     hidden_group_size_z
      - .offset:         74
        .size:           2
        .value_kind:     hidden_remainder_x
      - .offset:         76
        .size:           2
        .value_kind:     hidden_remainder_y
      - .offset:         78
        .size:           2
        .value_kind:     hidden_remainder_z
      - .offset:         96
        .size:           8
        .value_kind:     hidden_global_offset_x
      - .offset:         104
        .size:           8
        .value_kind:     hidden_global_offset_y
      - .offset:         112
        .size:           8
        .value_kind:     hidden_global_offset_z
      - .offset:         120
        .size:           2
        .value_kind:     hidden_grid_dims
    .group_segment_fixed_size: 0
    .kernarg_segment_align: 8
    .kernarg_segment_size: 312
    .language:       OpenCL C
    .language_version:
      - 2
      - 0
    .max_flat_workgroup_size: 1024
    .name:           _ZL25rocblas_symm_scale_kernelILi128ELi8EPKdPdEviiT1_T2_llli
    .private_segment_fixed_size: 0
    .sgpr_count:     18
    .sgpr_spill_count: 0
    .symbol:         _ZL25rocblas_symm_scale_kernelILi128ELi8EPKdPdEviiT1_T2_llli.kd
    .uniform_work_group_size: 1
    .uses_dynamic_stack: false
    .vgpr_count:     7
    .vgpr_spill_count: 0
    .wavefront_size: 32
    .workgroup_processor_mode: 1
  - .args:
      - .offset:         0
        .size:           1
        .value_kind:     by_value
      - .offset:         4
        .size:           4
        .value_kind:     by_value
      - .offset:         8
        .size:           4
        .value_kind:     by_value
      - .address_space:  global
        .offset:         16
        .size:           8
        .value_kind:     global_buffer
      - .address_space:  global
        .offset:         24
        .size:           8
        .value_kind:     global_buffer
      - .offset:         32
        .size:           8
        .value_kind:     by_value
      - .offset:         40
        .size:           8
        .value_kind:     by_value
      - .offset:         48
        .size:           8
        .value_kind:     by_value
      - .address_space:  global
        .offset:         56
        .size:           8
        .value_kind:     global_buffer
      - .offset:         64
        .size:           8
        .value_kind:     by_value
      - .offset:         72
        .size:           8
        .value_kind:     by_value
      - .offset:         80
        .size:           8
        .value_kind:     by_value
      - .address_space:  global
        .offset:         88
        .size:           8
        .value_kind:     global_buffer
      - .offset:         96
        .size:           8
        .value_kind:     by_value
      - .offset:         104
        .size:           8
        .value_kind:     by_value
      - .offset:         112
        .size:           8
        .value_kind:     by_value
      - .offset:         120
        .size:           4
        .value_kind:     by_value
      - .offset:         128
        .size:           4
        .value_kind:     hidden_block_count_x
      - .offset:         132
        .size:           4
        .value_kind:     hidden_block_count_y
      - .offset:         136
        .size:           4
        .value_kind:     hidden_block_count_z
      - .offset:         140
        .size:           2
        .value_kind:     hidden_group_size_x
      - .offset:         142
        .size:           2
        .value_kind:     hidden_group_size_y
      - .offset:         144
        .size:           2
        .value_kind:     hidden_group_size_z
      - .offset:         146
        .size:           2
        .value_kind:     hidden_remainder_x
      - .offset:         148
        .size:           2
        .value_kind:     hidden_remainder_y
      - .offset:         150
        .size:           2
        .value_kind:     hidden_remainder_z
      - .offset:         168
        .size:           8
        .value_kind:     hidden_global_offset_x
      - .offset:         176
        .size:           8
        .value_kind:     hidden_global_offset_y
      - .offset:         184
        .size:           8
        .value_kind:     hidden_global_offset_z
      - .offset:         192
        .size:           2
        .value_kind:     hidden_grid_dims
    .group_segment_fixed_size: 16384
    .kernarg_segment_align: 8
    .kernarg_segment_size: 384
    .language:       OpenCL C
    .language_version:
      - 2
      - 0
    .max_flat_workgroup_size: 1024
    .name:           _ZL24rocblas_symm_hemm_kernelILb0ELb0ELi32EPKdS1_PdEvbiiT2_T3_lllS4_lllT4_llli
    .private_segment_fixed_size: 0
    .sgpr_count:     42
    .sgpr_spill_count: 0
    .symbol:         _ZL24rocblas_symm_hemm_kernelILb0ELb0ELi32EPKdS1_PdEvbiiT2_T3_lllS4_lllT4_llli.kd
    .uniform_work_group_size: 1
    .uses_dynamic_stack: false
    .vgpr_count:     33
    .vgpr_spill_count: 0
    .wavefront_size: 32
    .workgroup_processor_mode: 1
  - .args:
      - .offset:         0
        .size:           1
        .value_kind:     by_value
      - .offset:         4
        .size:           4
        .value_kind:     by_value
      - .offset:         8
        .size:           4
        .value_kind:     by_value
      - .address_space:  global
        .offset:         16
        .size:           8
        .value_kind:     global_buffer
      - .address_space:  global
        .offset:         24
        .size:           8
        .value_kind:     global_buffer
      - .offset:         32
        .size:           8
        .value_kind:     by_value
      - .offset:         40
        .size:           8
        .value_kind:     by_value
      - .offset:         48
        .size:           8
        .value_kind:     by_value
      - .address_space:  global
        .offset:         56
        .size:           8
        .value_kind:     global_buffer
      - .offset:         64
        .size:           8
        .value_kind:     by_value
      - .offset:         72
        .size:           8
        .value_kind:     by_value
      - .offset:         80
        .size:           8
        .value_kind:     by_value
      - .address_space:  global
        .offset:         88
        .size:           8
        .value_kind:     global_buffer
      - .offset:         96
        .size:           8
        .value_kind:     by_value
      - .offset:         104
        .size:           8
        .value_kind:     by_value
      - .offset:         112
        .size:           8
        .value_kind:     by_value
      - .offset:         120
        .size:           4
        .value_kind:     by_value
      - .offset:         128
        .size:           4
        .value_kind:     hidden_block_count_x
      - .offset:         132
        .size:           4
        .value_kind:     hidden_block_count_y
      - .offset:         136
        .size:           4
        .value_kind:     hidden_block_count_z
      - .offset:         140
        .size:           2
        .value_kind:     hidden_group_size_x
      - .offset:         142
        .size:           2
        .value_kind:     hidden_group_size_y
      - .offset:         144
        .size:           2
        .value_kind:     hidden_group_size_z
      - .offset:         146
        .size:           2
        .value_kind:     hidden_remainder_x
      - .offset:         148
        .size:           2
        .value_kind:     hidden_remainder_y
      - .offset:         150
        .size:           2
        .value_kind:     hidden_remainder_z
      - .offset:         168
        .size:           8
        .value_kind:     hidden_global_offset_x
      - .offset:         176
        .size:           8
        .value_kind:     hidden_global_offset_y
      - .offset:         184
        .size:           8
        .value_kind:     hidden_global_offset_z
      - .offset:         192
        .size:           2
        .value_kind:     hidden_grid_dims
    .group_segment_fixed_size: 16384
    .kernarg_segment_align: 8
    .kernarg_segment_size: 384
    .language:       OpenCL C
    .language_version:
      - 2
      - 0
    .max_flat_workgroup_size: 1024
    .name:           _ZL24rocblas_symm_hemm_kernelILb0ELb1ELi32EPKdS1_PdEvbiiT2_T3_lllS4_lllT4_llli
    .private_segment_fixed_size: 0
    .sgpr_count:     42
    .sgpr_spill_count: 0
    .symbol:         _ZL24rocblas_symm_hemm_kernelILb0ELb1ELi32EPKdS1_PdEvbiiT2_T3_lllS4_lllT4_llli.kd
    .uniform_work_group_size: 1
    .uses_dynamic_stack: false
    .vgpr_count:     33
    .vgpr_spill_count: 0
    .wavefront_size: 32
    .workgroup_processor_mode: 1
  - .args:
      - .offset:         0
        .size:           4
        .value_kind:     by_value
      - .offset:         4
        .size:           4
        .value_kind:     by_value
      - .offset:         8
        .size:           8
        .value_kind:     by_value
      - .address_space:  global
        .offset:         16
        .size:           8
        .value_kind:     global_buffer
      - .offset:         24
        .size:           8
        .value_kind:     by_value
      - .offset:         32
        .size:           8
        .value_kind:     by_value
      - .offset:         40
        .size:           8
        .value_kind:     by_value
      - .offset:         48
        .size:           4
        .value_kind:     by_value
      - .offset:         56
        .size:           4
        .value_kind:     hidden_block_count_x
      - .offset:         60
        .size:           4
        .value_kind:     hidden_block_count_y
      - .offset:         64
        .size:           4
        .value_kind:     hidden_block_count_z
      - .offset:         68
        .size:           2
        .value_kind:     hidden_group_size_x
      - .offset:         70
        .size:           2
        .value_kind:     hidden_group_size_y
      - .offset:         72
        .size:           2
        .value_kind:     hidden_group_size_z
      - .offset:         74
        .size:           2
        .value_kind:     hidden_remainder_x
      - .offset:         76
        .size:           2
        .value_kind:     hidden_remainder_y
      - .offset:         78
        .size:           2
        .value_kind:     hidden_remainder_z
      - .offset:         96
        .size:           8
        .value_kind:     hidden_global_offset_x
      - .offset:         104
        .size:           8
        .value_kind:     hidden_global_offset_y
      - .offset:         112
        .size:           8
        .value_kind:     hidden_global_offset_z
      - .offset:         120
        .size:           2
        .value_kind:     hidden_grid_dims
    .group_segment_fixed_size: 0
    .kernarg_segment_align: 8
    .kernarg_segment_size: 312
    .language:       OpenCL C
    .language_version:
      - 2
      - 0
    .max_flat_workgroup_size: 1024
    .name:           _ZL25rocblas_symm_scale_kernelILi128ELi8EdPdEviiT1_T2_llli
    .private_segment_fixed_size: 0
    .sgpr_count:     18
    .sgpr_spill_count: 0
    .symbol:         _ZL25rocblas_symm_scale_kernelILi128ELi8EdPdEviiT1_T2_llli.kd
    .uniform_work_group_size: 1
    .uses_dynamic_stack: false
    .vgpr_count:     7
    .vgpr_spill_count: 0
    .wavefront_size: 32
    .workgroup_processor_mode: 1
  - .args:
      - .offset:         0
        .size:           1
        .value_kind:     by_value
      - .offset:         4
        .size:           4
        .value_kind:     by_value
      - .offset:         8
        .size:           4
        .value_kind:     by_value
      - .offset:         16
        .size:           8
        .value_kind:     by_value
      - .address_space:  global
        .offset:         24
        .size:           8
        .value_kind:     global_buffer
      - .offset:         32
        .size:           8
        .value_kind:     by_value
      - .offset:         40
        .size:           8
        .value_kind:     by_value
      - .offset:         48
        .size:           8
        .value_kind:     by_value
      - .address_space:  global
        .offset:         56
        .size:           8
        .value_kind:     global_buffer
      - .offset:         64
        .size:           8
        .value_kind:     by_value
      - .offset:         72
        .size:           8
        .value_kind:     by_value
      - .offset:         80
        .size:           8
        .value_kind:     by_value
      - .address_space:  global
        .offset:         88
        .size:           8
        .value_kind:     global_buffer
      - .offset:         96
        .size:           8
        .value_kind:     by_value
      - .offset:         104
        .size:           8
        .value_kind:     by_value
      - .offset:         112
        .size:           8
        .value_kind:     by_value
      - .offset:         120
        .size:           4
        .value_kind:     by_value
      - .offset:         128
        .size:           4
        .value_kind:     hidden_block_count_x
      - .offset:         132
        .size:           4
        .value_kind:     hidden_block_count_y
      - .offset:         136
        .size:           4
        .value_kind:     hidden_block_count_z
      - .offset:         140
        .size:           2
        .value_kind:     hidden_group_size_x
      - .offset:         142
        .size:           2
        .value_kind:     hidden_group_size_y
      - .offset:         144
        .size:           2
        .value_kind:     hidden_group_size_z
      - .offset:         146
        .size:           2
        .value_kind:     hidden_remainder_x
      - .offset:         148
        .size:           2
        .value_kind:     hidden_remainder_y
      - .offset:         150
        .size:           2
        .value_kind:     hidden_remainder_z
      - .offset:         168
        .size:           8
        .value_kind:     hidden_global_offset_x
      - .offset:         176
        .size:           8
        .value_kind:     hidden_global_offset_y
      - .offset:         184
        .size:           8
        .value_kind:     hidden_global_offset_z
      - .offset:         192
        .size:           2
        .value_kind:     hidden_grid_dims
    .group_segment_fixed_size: 16384
    .kernarg_segment_align: 8
    .kernarg_segment_size: 384
    .language:       OpenCL C
    .language_version:
      - 2
      - 0
    .max_flat_workgroup_size: 1024
    .name:           _ZL24rocblas_symm_hemm_kernelILb0ELb0ELi32EdPKdPdEvbiiT2_T3_lllS4_lllT4_llli
    .private_segment_fixed_size: 0
    .sgpr_count:     42
    .sgpr_spill_count: 0
    .symbol:         _ZL24rocblas_symm_hemm_kernelILb0ELb0ELi32EdPKdPdEvbiiT2_T3_lllS4_lllT4_llli.kd
    .uniform_work_group_size: 1
    .uses_dynamic_stack: false
    .vgpr_count:     33
    .vgpr_spill_count: 0
    .wavefront_size: 32
    .workgroup_processor_mode: 1
  - .args:
      - .offset:         0
        .size:           1
        .value_kind:     by_value
      - .offset:         4
        .size:           4
        .value_kind:     by_value
      - .offset:         8
        .size:           4
        .value_kind:     by_value
      - .offset:         16
        .size:           8
        .value_kind:     by_value
      - .address_space:  global
        .offset:         24
        .size:           8
        .value_kind:     global_buffer
      - .offset:         32
        .size:           8
        .value_kind:     by_value
      - .offset:         40
        .size:           8
        .value_kind:     by_value
      - .offset:         48
        .size:           8
        .value_kind:     by_value
      - .address_space:  global
        .offset:         56
        .size:           8
        .value_kind:     global_buffer
      - .offset:         64
        .size:           8
        .value_kind:     by_value
      - .offset:         72
        .size:           8
        .value_kind:     by_value
      - .offset:         80
        .size:           8
        .value_kind:     by_value
      - .address_space:  global
        .offset:         88
        .size:           8
        .value_kind:     global_buffer
      - .offset:         96
        .size:           8
        .value_kind:     by_value
      - .offset:         104
        .size:           8
        .value_kind:     by_value
      - .offset:         112
        .size:           8
        .value_kind:     by_value
      - .offset:         120
        .size:           4
        .value_kind:     by_value
      - .offset:         128
        .size:           4
        .value_kind:     hidden_block_count_x
      - .offset:         132
        .size:           4
        .value_kind:     hidden_block_count_y
      - .offset:         136
        .size:           4
        .value_kind:     hidden_block_count_z
      - .offset:         140
        .size:           2
        .value_kind:     hidden_group_size_x
      - .offset:         142
        .size:           2
        .value_kind:     hidden_group_size_y
      - .offset:         144
        .size:           2
        .value_kind:     hidden_group_size_z
      - .offset:         146
        .size:           2
        .value_kind:     hidden_remainder_x
      - .offset:         148
        .size:           2
        .value_kind:     hidden_remainder_y
      - .offset:         150
        .size:           2
        .value_kind:     hidden_remainder_z
      - .offset:         168
        .size:           8
        .value_kind:     hidden_global_offset_x
      - .offset:         176
        .size:           8
        .value_kind:     hidden_global_offset_y
      - .offset:         184
        .size:           8
        .value_kind:     hidden_global_offset_z
      - .offset:         192
        .size:           2
        .value_kind:     hidden_grid_dims
    .group_segment_fixed_size: 16384
    .kernarg_segment_align: 8
    .kernarg_segment_size: 384
    .language:       OpenCL C
    .language_version:
      - 2
      - 0
    .max_flat_workgroup_size: 1024
    .name:           _ZL24rocblas_symm_hemm_kernelILb0ELb1ELi32EdPKdPdEvbiiT2_T3_lllS4_lllT4_llli
    .private_segment_fixed_size: 0
    .sgpr_count:     42
    .sgpr_spill_count: 0
    .symbol:         _ZL24rocblas_symm_hemm_kernelILb0ELb1ELi32EdPKdPdEvbiiT2_T3_lllS4_lllT4_llli.kd
    .uniform_work_group_size: 1
    .uses_dynamic_stack: false
    .vgpr_count:     33
    .vgpr_spill_count: 0
    .wavefront_size: 32
    .workgroup_processor_mode: 1
  - .args:
      - .offset:         0
        .size:           4
        .value_kind:     by_value
      - .offset:         4
        .size:           4
        .value_kind:     by_value
      - .address_space:  global
        .offset:         8
        .size:           8
        .value_kind:     global_buffer
      - .address_space:  global
        .offset:         16
        .size:           8
        .value_kind:     global_buffer
      - .offset:         24
        .size:           8
        .value_kind:     by_value
      - .offset:         32
        .size:           8
        .value_kind:     by_value
      - .offset:         40
        .size:           8
        .value_kind:     by_value
      - .offset:         48
        .size:           4
        .value_kind:     by_value
      - .offset:         56
        .size:           4
        .value_kind:     hidden_block_count_x
      - .offset:         60
        .size:           4
        .value_kind:     hidden_block_count_y
      - .offset:         64
        .size:           4
        .value_kind:     hidden_block_count_z
      - .offset:         68
        .size:           2
        .value_kind:     hidden_group_size_x
      - .offset:         70
        .size:           2
        .value_kind:     hidden_group_size_y
      - .offset:         72
        .size:           2
        .value_kind:     hidden_group_size_z
      - .offset:         74
        .size:           2
        .value_kind:     hidden_remainder_x
      - .offset:         76
        .size:           2
        .value_kind:     hidden_remainder_y
      - .offset:         78
        .size:           2
        .value_kind:     hidden_remainder_z
      - .offset:         96
        .size:           8
        .value_kind:     hidden_global_offset_x
      - .offset:         104
        .size:           8
        .value_kind:     hidden_global_offset_y
      - .offset:         112
        .size:           8
        .value_kind:     hidden_global_offset_z
      - .offset:         120
        .size:           2
        .value_kind:     hidden_grid_dims
    .group_segment_fixed_size: 0
    .kernarg_segment_align: 8
    .kernarg_segment_size: 312
    .language:       OpenCL C
    .language_version:
      - 2
      - 0
    .max_flat_workgroup_size: 1024
    .name:           _ZL25rocblas_symm_scale_kernelILi128ELi8EPK19rocblas_complex_numIfEPS1_EviiT1_T2_llli
    .private_segment_fixed_size: 0
    .sgpr_count:     20
    .sgpr_spill_count: 0
    .symbol:         _ZL25rocblas_symm_scale_kernelILi128ELi8EPK19rocblas_complex_numIfEPS1_EviiT1_T2_llli.kd
    .uniform_work_group_size: 1
    .uses_dynamic_stack: false
    .vgpr_count:     8
    .vgpr_spill_count: 0
    .wavefront_size: 32
    .workgroup_processor_mode: 1
  - .args:
      - .offset:         0
        .size:           1
        .value_kind:     by_value
      - .offset:         4
        .size:           4
        .value_kind:     by_value
      - .offset:         8
        .size:           4
        .value_kind:     by_value
      - .address_space:  global
        .offset:         16
        .size:           8
        .value_kind:     global_buffer
      - .address_space:  global
        .offset:         24
        .size:           8
        .value_kind:     global_buffer
      - .offset:         32
        .size:           8
        .value_kind:     by_value
      - .offset:         40
        .size:           8
        .value_kind:     by_value
      - .offset:         48
        .size:           8
        .value_kind:     by_value
      - .address_space:  global
        .offset:         56
        .size:           8
        .value_kind:     global_buffer
      - .offset:         64
        .size:           8
        .value_kind:     by_value
      - .offset:         72
        .size:           8
        .value_kind:     by_value
      - .offset:         80
        .size:           8
        .value_kind:     by_value
      - .address_space:  global
        .offset:         88
        .size:           8
        .value_kind:     global_buffer
      - .offset:         96
        .size:           8
        .value_kind:     by_value
      - .offset:         104
        .size:           8
        .value_kind:     by_value
      - .offset:         112
        .size:           8
        .value_kind:     by_value
      - .offset:         120
        .size:           4
        .value_kind:     by_value
      - .offset:         128
        .size:           4
        .value_kind:     hidden_block_count_x
      - .offset:         132
        .size:           4
        .value_kind:     hidden_block_count_y
      - .offset:         136
        .size:           4
        .value_kind:     hidden_block_count_z
      - .offset:         140
        .size:           2
        .value_kind:     hidden_group_size_x
      - .offset:         142
        .size:           2
        .value_kind:     hidden_group_size_y
      - .offset:         144
        .size:           2
        .value_kind:     hidden_group_size_z
      - .offset:         146
        .size:           2
        .value_kind:     hidden_remainder_x
      - .offset:         148
        .size:           2
        .value_kind:     hidden_remainder_y
      - .offset:         150
        .size:           2
        .value_kind:     hidden_remainder_z
      - .offset:         168
        .size:           8
        .value_kind:     hidden_global_offset_x
      - .offset:         176
        .size:           8
        .value_kind:     hidden_global_offset_y
      - .offset:         184
        .size:           8
        .value_kind:     hidden_global_offset_z
      - .offset:         192
        .size:           2
        .value_kind:     hidden_grid_dims
    .group_segment_fixed_size: 16384
    .kernarg_segment_align: 8
    .kernarg_segment_size: 384
    .language:       OpenCL C
    .language_version:
      - 2
      - 0
    .max_flat_workgroup_size: 1024
    .name:           _ZL24rocblas_symm_hemm_kernelILb0ELb0ELi32EPK19rocblas_complex_numIfES3_PS1_EvbiiT2_T3_lllS6_lllT4_llli
    .private_segment_fixed_size: 0
    .sgpr_count:     42
    .sgpr_spill_count: 0
    .symbol:         _ZL24rocblas_symm_hemm_kernelILb0ELb0ELi32EPK19rocblas_complex_numIfES3_PS1_EvbiiT2_T3_lllS6_lllT4_llli.kd
    .uniform_work_group_size: 1
    .uses_dynamic_stack: false
    .vgpr_count:     53
    .vgpr_spill_count: 0
    .wavefront_size: 32
    .workgroup_processor_mode: 1
  - .args:
      - .offset:         0
        .size:           1
        .value_kind:     by_value
      - .offset:         4
        .size:           4
        .value_kind:     by_value
      - .offset:         8
        .size:           4
        .value_kind:     by_value
      - .address_space:  global
        .offset:         16
        .size:           8
        .value_kind:     global_buffer
      - .address_space:  global
        .offset:         24
        .size:           8
        .value_kind:     global_buffer
      - .offset:         32
        .size:           8
        .value_kind:     by_value
      - .offset:         40
        .size:           8
        .value_kind:     by_value
      - .offset:         48
        .size:           8
        .value_kind:     by_value
      - .address_space:  global
        .offset:         56
        .size:           8
        .value_kind:     global_buffer
      - .offset:         64
        .size:           8
        .value_kind:     by_value
      - .offset:         72
        .size:           8
        .value_kind:     by_value
      - .offset:         80
        .size:           8
        .value_kind:     by_value
      - .address_space:  global
        .offset:         88
        .size:           8
        .value_kind:     global_buffer
      - .offset:         96
        .size:           8
        .value_kind:     by_value
      - .offset:         104
        .size:           8
        .value_kind:     by_value
      - .offset:         112
        .size:           8
        .value_kind:     by_value
      - .offset:         120
        .size:           4
        .value_kind:     by_value
      - .offset:         128
        .size:           4
        .value_kind:     hidden_block_count_x
      - .offset:         132
        .size:           4
        .value_kind:     hidden_block_count_y
      - .offset:         136
        .size:           4
        .value_kind:     hidden_block_count_z
      - .offset:         140
        .size:           2
        .value_kind:     hidden_group_size_x
      - .offset:         142
        .size:           2
        .value_kind:     hidden_group_size_y
      - .offset:         144
        .size:           2
        .value_kind:     hidden_group_size_z
      - .offset:         146
        .size:           2
        .value_kind:     hidden_remainder_x
      - .offset:         148
        .size:           2
        .value_kind:     hidden_remainder_y
      - .offset:         150
        .size:           2
        .value_kind:     hidden_remainder_z
      - .offset:         168
        .size:           8
        .value_kind:     hidden_global_offset_x
      - .offset:         176
        .size:           8
        .value_kind:     hidden_global_offset_y
      - .offset:         184
        .size:           8
        .value_kind:     hidden_global_offset_z
      - .offset:         192
        .size:           2
        .value_kind:     hidden_grid_dims
    .group_segment_fixed_size: 16384
    .kernarg_segment_align: 8
    .kernarg_segment_size: 384
    .language:       OpenCL C
    .language_version:
      - 2
      - 0
    .max_flat_workgroup_size: 1024
    .name:           _ZL24rocblas_symm_hemm_kernelILb0ELb1ELi32EPK19rocblas_complex_numIfES3_PS1_EvbiiT2_T3_lllS6_lllT4_llli
    .private_segment_fixed_size: 0
    .sgpr_count:     42
    .sgpr_spill_count: 0
    .symbol:         _ZL24rocblas_symm_hemm_kernelILb0ELb1ELi32EPK19rocblas_complex_numIfES3_PS1_EvbiiT2_T3_lllS6_lllT4_llli.kd
    .uniform_work_group_size: 1
    .uses_dynamic_stack: false
    .vgpr_count:     53
    .vgpr_spill_count: 0
    .wavefront_size: 32
    .workgroup_processor_mode: 1
  - .args:
      - .offset:         0
        .size:           4
        .value_kind:     by_value
      - .offset:         4
        .size:           4
        .value_kind:     by_value
      - .offset:         8
        .size:           8
        .value_kind:     by_value
      - .address_space:  global
        .offset:         16
        .size:           8
        .value_kind:     global_buffer
      - .offset:         24
        .size:           8
        .value_kind:     by_value
      - .offset:         32
        .size:           8
        .value_kind:     by_value
      - .offset:         40
        .size:           8
        .value_kind:     by_value
      - .offset:         48
        .size:           4
        .value_kind:     by_value
      - .offset:         56
        .size:           4
        .value_kind:     hidden_block_count_x
      - .offset:         60
        .size:           4
        .value_kind:     hidden_block_count_y
      - .offset:         64
        .size:           4
        .value_kind:     hidden_block_count_z
      - .offset:         68
        .size:           2
        .value_kind:     hidden_group_size_x
      - .offset:         70
        .size:           2
        .value_kind:     hidden_group_size_y
      - .offset:         72
        .size:           2
        .value_kind:     hidden_group_size_z
      - .offset:         74
        .size:           2
        .value_kind:     hidden_remainder_x
      - .offset:         76
        .size:           2
        .value_kind:     hidden_remainder_y
      - .offset:         78
        .size:           2
        .value_kind:     hidden_remainder_z
      - .offset:         96
        .size:           8
        .value_kind:     hidden_global_offset_x
      - .offset:         104
        .size:           8
        .value_kind:     hidden_global_offset_y
      - .offset:         112
        .size:           8
        .value_kind:     hidden_global_offset_z
      - .offset:         120
        .size:           2
        .value_kind:     hidden_grid_dims
    .group_segment_fixed_size: 0
    .kernarg_segment_align: 8
    .kernarg_segment_size: 312
    .language:       OpenCL C
    .language_version:
      - 2
      - 0
    .max_flat_workgroup_size: 1024
    .name:           _ZL25rocblas_symm_scale_kernelILi128ELi8E19rocblas_complex_numIfEPS1_EviiT1_T2_llli
    .private_segment_fixed_size: 0
    .sgpr_count:     22
    .sgpr_spill_count: 0
    .symbol:         _ZL25rocblas_symm_scale_kernelILi128ELi8E19rocblas_complex_numIfEPS1_EviiT1_T2_llli.kd
    .uniform_work_group_size: 1
    .uses_dynamic_stack: false
    .vgpr_count:     8
    .vgpr_spill_count: 0
    .wavefront_size: 32
    .workgroup_processor_mode: 1
  - .args:
      - .offset:         0
        .size:           1
        .value_kind:     by_value
      - .offset:         4
        .size:           4
        .value_kind:     by_value
      - .offset:         8
        .size:           4
        .value_kind:     by_value
      - .offset:         12
        .size:           8
        .value_kind:     by_value
      - .address_space:  global
        .offset:         24
        .size:           8
        .value_kind:     global_buffer
      - .offset:         32
        .size:           8
        .value_kind:     by_value
      - .offset:         40
        .size:           8
        .value_kind:     by_value
      - .offset:         48
        .size:           8
        .value_kind:     by_value
      - .address_space:  global
        .offset:         56
        .size:           8
        .value_kind:     global_buffer
      - .offset:         64
        .size:           8
        .value_kind:     by_value
      - .offset:         72
        .size:           8
        .value_kind:     by_value
      - .offset:         80
        .size:           8
        .value_kind:     by_value
      - .address_space:  global
        .offset:         88
        .size:           8
        .value_kind:     global_buffer
      - .offset:         96
        .size:           8
        .value_kind:     by_value
      - .offset:         104
        .size:           8
        .value_kind:     by_value
      - .offset:         112
        .size:           8
        .value_kind:     by_value
      - .offset:         120
        .size:           4
        .value_kind:     by_value
      - .offset:         128
        .size:           4
        .value_kind:     hidden_block_count_x
      - .offset:         132
        .size:           4
        .value_kind:     hidden_block_count_y
      - .offset:         136
        .size:           4
        .value_kind:     hidden_block_count_z
      - .offset:         140
        .size:           2
        .value_kind:     hidden_group_size_x
      - .offset:         142
        .size:           2
        .value_kind:     hidden_group_size_y
      - .offset:         144
        .size:           2
        .value_kind:     hidden_group_size_z
      - .offset:         146
        .size:           2
        .value_kind:     hidden_remainder_x
      - .offset:         148
        .size:           2
        .value_kind:     hidden_remainder_y
      - .offset:         150
        .size:           2
        .value_kind:     hidden_remainder_z
      - .offset:         168
        .size:           8
        .value_kind:     hidden_global_offset_x
      - .offset:         176
        .size:           8
        .value_kind:     hidden_global_offset_y
      - .offset:         184
        .size:           8
        .value_kind:     hidden_global_offset_z
      - .offset:         192
        .size:           2
        .value_kind:     hidden_grid_dims
    .group_segment_fixed_size: 16384
    .kernarg_segment_align: 8
    .kernarg_segment_size: 384
    .language:       OpenCL C
    .language_version:
      - 2
      - 0
    .max_flat_workgroup_size: 1024
    .name:           _ZL24rocblas_symm_hemm_kernelILb0ELb0ELi32E19rocblas_complex_numIfEPKS1_PS1_EvbiiT2_T3_lllS6_lllT4_llli
    .private_segment_fixed_size: 0
    .sgpr_count:     42
    .sgpr_spill_count: 0
    .symbol:         _ZL24rocblas_symm_hemm_kernelILb0ELb0ELi32E19rocblas_complex_numIfEPKS1_PS1_EvbiiT2_T3_lllS6_lllT4_llli.kd
    .uniform_work_group_size: 1
    .uses_dynamic_stack: false
    .vgpr_count:     53
    .vgpr_spill_count: 0
    .wavefront_size: 32
    .workgroup_processor_mode: 1
  - .args:
      - .offset:         0
        .size:           1
        .value_kind:     by_value
      - .offset:         4
        .size:           4
        .value_kind:     by_value
      - .offset:         8
        .size:           4
        .value_kind:     by_value
      - .offset:         12
        .size:           8
        .value_kind:     by_value
      - .address_space:  global
        .offset:         24
        .size:           8
        .value_kind:     global_buffer
      - .offset:         32
        .size:           8
        .value_kind:     by_value
      - .offset:         40
        .size:           8
        .value_kind:     by_value
      - .offset:         48
        .size:           8
        .value_kind:     by_value
      - .address_space:  global
        .offset:         56
        .size:           8
        .value_kind:     global_buffer
      - .offset:         64
        .size:           8
        .value_kind:     by_value
      - .offset:         72
        .size:           8
        .value_kind:     by_value
      - .offset:         80
        .size:           8
        .value_kind:     by_value
      - .address_space:  global
        .offset:         88
        .size:           8
        .value_kind:     global_buffer
      - .offset:         96
        .size:           8
        .value_kind:     by_value
      - .offset:         104
        .size:           8
        .value_kind:     by_value
      - .offset:         112
        .size:           8
        .value_kind:     by_value
      - .offset:         120
        .size:           4
        .value_kind:     by_value
      - .offset:         128
        .size:           4
        .value_kind:     hidden_block_count_x
      - .offset:         132
        .size:           4
        .value_kind:     hidden_block_count_y
      - .offset:         136
        .size:           4
        .value_kind:     hidden_block_count_z
      - .offset:         140
        .size:           2
        .value_kind:     hidden_group_size_x
      - .offset:         142
        .size:           2
        .value_kind:     hidden_group_size_y
      - .offset:         144
        .size:           2
        .value_kind:     hidden_group_size_z
      - .offset:         146
        .size:           2
        .value_kind:     hidden_remainder_x
      - .offset:         148
        .size:           2
        .value_kind:     hidden_remainder_y
      - .offset:         150
        .size:           2
        .value_kind:     hidden_remainder_z
      - .offset:         168
        .size:           8
        .value_kind:     hidden_global_offset_x
      - .offset:         176
        .size:           8
        .value_kind:     hidden_global_offset_y
      - .offset:         184
        .size:           8
        .value_kind:     hidden_global_offset_z
      - .offset:         192
        .size:           2
        .value_kind:     hidden_grid_dims
    .group_segment_fixed_size: 16384
    .kernarg_segment_align: 8
    .kernarg_segment_size: 384
    .language:       OpenCL C
    .language_version:
      - 2
      - 0
    .max_flat_workgroup_size: 1024
    .name:           _ZL24rocblas_symm_hemm_kernelILb0ELb1ELi32E19rocblas_complex_numIfEPKS1_PS1_EvbiiT2_T3_lllS6_lllT4_llli
    .private_segment_fixed_size: 0
    .sgpr_count:     42
    .sgpr_spill_count: 0
    .symbol:         _ZL24rocblas_symm_hemm_kernelILb0ELb1ELi32E19rocblas_complex_numIfEPKS1_PS1_EvbiiT2_T3_lllS6_lllT4_llli.kd
    .uniform_work_group_size: 1
    .uses_dynamic_stack: false
    .vgpr_count:     53
    .vgpr_spill_count: 0
    .wavefront_size: 32
    .workgroup_processor_mode: 1
  - .args:
      - .offset:         0
        .size:           4
        .value_kind:     by_value
      - .offset:         4
        .size:           4
        .value_kind:     by_value
      - .address_space:  global
        .offset:         8
        .size:           8
        .value_kind:     global_buffer
      - .address_space:  global
        .offset:         16
        .size:           8
        .value_kind:     global_buffer
      - .offset:         24
        .size:           8
        .value_kind:     by_value
      - .offset:         32
        .size:           8
        .value_kind:     by_value
      - .offset:         40
        .size:           8
        .value_kind:     by_value
      - .offset:         48
        .size:           4
        .value_kind:     by_value
      - .offset:         56
        .size:           4
        .value_kind:     hidden_block_count_x
      - .offset:         60
        .size:           4
        .value_kind:     hidden_block_count_y
      - .offset:         64
        .size:           4
        .value_kind:     hidden_block_count_z
      - .offset:         68
        .size:           2
        .value_kind:     hidden_group_size_x
      - .offset:         70
        .size:           2
        .value_kind:     hidden_group_size_y
      - .offset:         72
        .size:           2
        .value_kind:     hidden_group_size_z
      - .offset:         74
        .size:           2
        .value_kind:     hidden_remainder_x
      - .offset:         76
        .size:           2
        .value_kind:     hidden_remainder_y
      - .offset:         78
        .size:           2
        .value_kind:     hidden_remainder_z
      - .offset:         96
        .size:           8
        .value_kind:     hidden_global_offset_x
      - .offset:         104
        .size:           8
        .value_kind:     hidden_global_offset_y
      - .offset:         112
        .size:           8
        .value_kind:     hidden_global_offset_z
      - .offset:         120
        .size:           2
        .value_kind:     hidden_grid_dims
    .group_segment_fixed_size: 0
    .kernarg_segment_align: 8
    .kernarg_segment_size: 312
    .language:       OpenCL C
    .language_version:
      - 2
      - 0
    .max_flat_workgroup_size: 1024
    .name:           _ZL25rocblas_symm_scale_kernelILi128ELi8EPK19rocblas_complex_numIdEPS1_EviiT1_T2_llli
    .private_segment_fixed_size: 0
    .sgpr_count:     24
    .sgpr_spill_count: 0
    .symbol:         _ZL25rocblas_symm_scale_kernelILi128ELi8EPK19rocblas_complex_numIdEPS1_EviiT1_T2_llli.kd
    .uniform_work_group_size: 1
    .uses_dynamic_stack: false
    .vgpr_count:     12
    .vgpr_spill_count: 0
    .wavefront_size: 32
    .workgroup_processor_mode: 1
  - .args:
      - .offset:         0
        .size:           1
        .value_kind:     by_value
      - .offset:         4
        .size:           4
        .value_kind:     by_value
      - .offset:         8
        .size:           4
        .value_kind:     by_value
      - .address_space:  global
        .offset:         16
        .size:           8
        .value_kind:     global_buffer
      - .address_space:  global
        .offset:         24
        .size:           8
        .value_kind:     global_buffer
      - .offset:         32
        .size:           8
        .value_kind:     by_value
      - .offset:         40
        .size:           8
        .value_kind:     by_value
      - .offset:         48
        .size:           8
        .value_kind:     by_value
      - .address_space:  global
        .offset:         56
        .size:           8
        .value_kind:     global_buffer
      - .offset:         64
        .size:           8
        .value_kind:     by_value
      - .offset:         72
        .size:           8
        .value_kind:     by_value
      - .offset:         80
        .size:           8
        .value_kind:     by_value
      - .address_space:  global
        .offset:         88
        .size:           8
        .value_kind:     global_buffer
      - .offset:         96
        .size:           8
        .value_kind:     by_value
      - .offset:         104
        .size:           8
        .value_kind:     by_value
      - .offset:         112
        .size:           8
        .value_kind:     by_value
      - .offset:         120
        .size:           4
        .value_kind:     by_value
      - .offset:         128
        .size:           4
        .value_kind:     hidden_block_count_x
      - .offset:         132
        .size:           4
        .value_kind:     hidden_block_count_y
      - .offset:         136
        .size:           4
        .value_kind:     hidden_block_count_z
      - .offset:         140
        .size:           2
        .value_kind:     hidden_group_size_x
      - .offset:         142
        .size:           2
        .value_kind:     hidden_group_size_y
      - .offset:         144
        .size:           2
        .value_kind:     hidden_group_size_z
      - .offset:         146
        .size:           2
        .value_kind:     hidden_remainder_x
      - .offset:         148
        .size:           2
        .value_kind:     hidden_remainder_y
      - .offset:         150
        .size:           2
        .value_kind:     hidden_remainder_z
      - .offset:         168
        .size:           8
        .value_kind:     hidden_global_offset_x
      - .offset:         176
        .size:           8
        .value_kind:     hidden_global_offset_y
      - .offset:         184
        .size:           8
        .value_kind:     hidden_global_offset_z
      - .offset:         192
        .size:           2
        .value_kind:     hidden_grid_dims
    .group_segment_fixed_size: 32768
    .kernarg_segment_align: 8
    .kernarg_segment_size: 384
    .language:       OpenCL C
    .language_version:
      - 2
      - 0
    .max_flat_workgroup_size: 1024
    .name:           _ZL24rocblas_symm_hemm_kernelILb0ELb0ELi32EPK19rocblas_complex_numIdES3_PS1_EvbiiT2_T3_lllS6_lllT4_llli
    .private_segment_fixed_size: 0
    .sgpr_count:     46
    .sgpr_spill_count: 0
    .symbol:         _ZL24rocblas_symm_hemm_kernelILb0ELb0ELi32EPK19rocblas_complex_numIdES3_PS1_EvbiiT2_T3_lllS6_lllT4_llli.kd
    .uniform_work_group_size: 1
    .uses_dynamic_stack: false
    .vgpr_count:     51
    .vgpr_spill_count: 0
    .wavefront_size: 32
    .workgroup_processor_mode: 1
  - .args:
      - .offset:         0
        .size:           1
        .value_kind:     by_value
      - .offset:         4
        .size:           4
        .value_kind:     by_value
      - .offset:         8
        .size:           4
        .value_kind:     by_value
      - .address_space:  global
        .offset:         16
        .size:           8
        .value_kind:     global_buffer
      - .address_space:  global
        .offset:         24
        .size:           8
        .value_kind:     global_buffer
      - .offset:         32
        .size:           8
        .value_kind:     by_value
      - .offset:         40
        .size:           8
        .value_kind:     by_value
      - .offset:         48
        .size:           8
        .value_kind:     by_value
      - .address_space:  global
        .offset:         56
        .size:           8
        .value_kind:     global_buffer
      - .offset:         64
        .size:           8
        .value_kind:     by_value
      - .offset:         72
        .size:           8
        .value_kind:     by_value
      - .offset:         80
        .size:           8
        .value_kind:     by_value
      - .address_space:  global
        .offset:         88
        .size:           8
        .value_kind:     global_buffer
      - .offset:         96
        .size:           8
        .value_kind:     by_value
      - .offset:         104
        .size:           8
        .value_kind:     by_value
      - .offset:         112
        .size:           8
        .value_kind:     by_value
      - .offset:         120
        .size:           4
        .value_kind:     by_value
      - .offset:         128
        .size:           4
        .value_kind:     hidden_block_count_x
      - .offset:         132
        .size:           4
        .value_kind:     hidden_block_count_y
      - .offset:         136
        .size:           4
        .value_kind:     hidden_block_count_z
      - .offset:         140
        .size:           2
        .value_kind:     hidden_group_size_x
      - .offset:         142
        .size:           2
        .value_kind:     hidden_group_size_y
      - .offset:         144
        .size:           2
        .value_kind:     hidden_group_size_z
      - .offset:         146
        .size:           2
        .value_kind:     hidden_remainder_x
      - .offset:         148
        .size:           2
        .value_kind:     hidden_remainder_y
      - .offset:         150
        .size:           2
        .value_kind:     hidden_remainder_z
      - .offset:         168
        .size:           8
        .value_kind:     hidden_global_offset_x
      - .offset:         176
        .size:           8
        .value_kind:     hidden_global_offset_y
      - .offset:         184
        .size:           8
        .value_kind:     hidden_global_offset_z
      - .offset:         192
        .size:           2
        .value_kind:     hidden_grid_dims
    .group_segment_fixed_size: 32768
    .kernarg_segment_align: 8
    .kernarg_segment_size: 384
    .language:       OpenCL C
    .language_version:
      - 2
      - 0
    .max_flat_workgroup_size: 1024
    .name:           _ZL24rocblas_symm_hemm_kernelILb0ELb1ELi32EPK19rocblas_complex_numIdES3_PS1_EvbiiT2_T3_lllS6_lllT4_llli
    .private_segment_fixed_size: 0
    .sgpr_count:     46
    .sgpr_spill_count: 0
    .symbol:         _ZL24rocblas_symm_hemm_kernelILb0ELb1ELi32EPK19rocblas_complex_numIdES3_PS1_EvbiiT2_T3_lllS6_lllT4_llli.kd
    .uniform_work_group_size: 1
    .uses_dynamic_stack: false
    .vgpr_count:     51
    .vgpr_spill_count: 0
    .wavefront_size: 32
    .workgroup_processor_mode: 1
  - .args:
      - .offset:         0
        .size:           4
        .value_kind:     by_value
      - .offset:         4
        .size:           4
        .value_kind:     by_value
      - .offset:         8
        .size:           16
        .value_kind:     by_value
      - .address_space:  global
        .offset:         24
        .size:           8
        .value_kind:     global_buffer
      - .offset:         32
        .size:           8
        .value_kind:     by_value
      - .offset:         40
        .size:           8
        .value_kind:     by_value
      - .offset:         48
        .size:           8
        .value_kind:     by_value
      - .offset:         56
        .size:           4
        .value_kind:     by_value
      - .offset:         64
        .size:           4
        .value_kind:     hidden_block_count_x
      - .offset:         68
        .size:           4
        .value_kind:     hidden_block_count_y
      - .offset:         72
        .size:           4
        .value_kind:     hidden_block_count_z
      - .offset:         76
        .size:           2
        .value_kind:     hidden_group_size_x
      - .offset:         78
        .size:           2
        .value_kind:     hidden_group_size_y
      - .offset:         80
        .size:           2
        .value_kind:     hidden_group_size_z
      - .offset:         82
        .size:           2
        .value_kind:     hidden_remainder_x
      - .offset:         84
        .size:           2
        .value_kind:     hidden_remainder_y
      - .offset:         86
        .size:           2
        .value_kind:     hidden_remainder_z
      - .offset:         104
        .size:           8
        .value_kind:     hidden_global_offset_x
      - .offset:         112
        .size:           8
        .value_kind:     hidden_global_offset_y
      - .offset:         120
        .size:           8
        .value_kind:     hidden_global_offset_z
      - .offset:         128
        .size:           2
        .value_kind:     hidden_grid_dims
    .group_segment_fixed_size: 0
    .kernarg_segment_align: 8
    .kernarg_segment_size: 320
    .language:       OpenCL C
    .language_version:
      - 2
      - 0
    .max_flat_workgroup_size: 1024
    .name:           _ZL25rocblas_symm_scale_kernelILi128ELi8E19rocblas_complex_numIdEPS1_EviiT1_T2_llli
    .private_segment_fixed_size: 0
    .sgpr_count:     24
    .sgpr_spill_count: 0
    .symbol:         _ZL25rocblas_symm_scale_kernelILi128ELi8E19rocblas_complex_numIdEPS1_EviiT1_T2_llli.kd
    .uniform_work_group_size: 1
    .uses_dynamic_stack: false
    .vgpr_count:     12
    .vgpr_spill_count: 0
    .wavefront_size: 32
    .workgroup_processor_mode: 1
  - .args:
      - .offset:         0
        .size:           1
        .value_kind:     by_value
      - .offset:         4
        .size:           4
        .value_kind:     by_value
      - .offset:         8
        .size:           4
        .value_kind:     by_value
      - .offset:         16
        .size:           16
        .value_kind:     by_value
      - .address_space:  global
        .offset:         32
        .size:           8
        .value_kind:     global_buffer
      - .offset:         40
        .size:           8
        .value_kind:     by_value
      - .offset:         48
        .size:           8
        .value_kind:     by_value
      - .offset:         56
        .size:           8
        .value_kind:     by_value
      - .address_space:  global
        .offset:         64
        .size:           8
        .value_kind:     global_buffer
      - .offset:         72
        .size:           8
        .value_kind:     by_value
      - .offset:         80
        .size:           8
        .value_kind:     by_value
      - .offset:         88
        .size:           8
        .value_kind:     by_value
      - .address_space:  global
        .offset:         96
        .size:           8
        .value_kind:     global_buffer
      - .offset:         104
        .size:           8
        .value_kind:     by_value
      - .offset:         112
        .size:           8
        .value_kind:     by_value
      - .offset:         120
        .size:           8
        .value_kind:     by_value
      - .offset:         128
        .size:           4
        .value_kind:     by_value
      - .offset:         136
        .size:           4
        .value_kind:     hidden_block_count_x
      - .offset:         140
        .size:           4
        .value_kind:     hidden_block_count_y
      - .offset:         144
        .size:           4
        .value_kind:     hidden_block_count_z
      - .offset:         148
        .size:           2
        .value_kind:     hidden_group_size_x
      - .offset:         150
        .size:           2
        .value_kind:     hidden_group_size_y
      - .offset:         152
        .size:           2
        .value_kind:     hidden_group_size_z
      - .offset:         154
        .size:           2
        .value_kind:     hidden_remainder_x
      - .offset:         156
        .size:           2
        .value_kind:     hidden_remainder_y
      - .offset:         158
        .size:           2
        .value_kind:     hidden_remainder_z
      - .offset:         176
        .size:           8
        .value_kind:     hidden_global_offset_x
      - .offset:         184
        .size:           8
        .value_kind:     hidden_global_offset_y
      - .offset:         192
        .size:           8
        .value_kind:     hidden_global_offset_z
      - .offset:         200
        .size:           2
        .value_kind:     hidden_grid_dims
    .group_segment_fixed_size: 32768
    .kernarg_segment_align: 8
    .kernarg_segment_size: 392
    .language:       OpenCL C
    .language_version:
      - 2
      - 0
    .max_flat_workgroup_size: 1024
    .name:           _ZL24rocblas_symm_hemm_kernelILb0ELb0ELi32E19rocblas_complex_numIdEPKS1_PS1_EvbiiT2_T3_lllS6_lllT4_llli
    .private_segment_fixed_size: 0
    .sgpr_count:     46
    .sgpr_spill_count: 0
    .symbol:         _ZL24rocblas_symm_hemm_kernelILb0ELb0ELi32E19rocblas_complex_numIdEPKS1_PS1_EvbiiT2_T3_lllS6_lllT4_llli.kd
    .uniform_work_group_size: 1
    .uses_dynamic_stack: false
    .vgpr_count:     51
    .vgpr_spill_count: 0
    .wavefront_size: 32
    .workgroup_processor_mode: 1
  - .args:
      - .offset:         0
        .size:           1
        .value_kind:     by_value
      - .offset:         4
        .size:           4
        .value_kind:     by_value
      - .offset:         8
        .size:           4
        .value_kind:     by_value
      - .offset:         16
        .size:           16
        .value_kind:     by_value
      - .address_space:  global
        .offset:         32
        .size:           8
        .value_kind:     global_buffer
      - .offset:         40
        .size:           8
        .value_kind:     by_value
      - .offset:         48
        .size:           8
        .value_kind:     by_value
      - .offset:         56
        .size:           8
        .value_kind:     by_value
      - .address_space:  global
        .offset:         64
        .size:           8
        .value_kind:     global_buffer
      - .offset:         72
        .size:           8
        .value_kind:     by_value
      - .offset:         80
        .size:           8
        .value_kind:     by_value
      - .offset:         88
        .size:           8
        .value_kind:     by_value
      - .address_space:  global
        .offset:         96
        .size:           8
        .value_kind:     global_buffer
      - .offset:         104
        .size:           8
        .value_kind:     by_value
      - .offset:         112
        .size:           8
        .value_kind:     by_value
      - .offset:         120
        .size:           8
        .value_kind:     by_value
      - .offset:         128
        .size:           4
        .value_kind:     by_value
      - .offset:         136
        .size:           4
        .value_kind:     hidden_block_count_x
      - .offset:         140
        .size:           4
        .value_kind:     hidden_block_count_y
      - .offset:         144
        .size:           4
        .value_kind:     hidden_block_count_z
      - .offset:         148
        .size:           2
        .value_kind:     hidden_group_size_x
      - .offset:         150
        .size:           2
        .value_kind:     hidden_group_size_y
      - .offset:         152
        .size:           2
        .value_kind:     hidden_group_size_z
      - .offset:         154
        .size:           2
        .value_kind:     hidden_remainder_x
      - .offset:         156
        .size:           2
        .value_kind:     hidden_remainder_y
      - .offset:         158
        .size:           2
        .value_kind:     hidden_remainder_z
      - .offset:         176
        .size:           8
        .value_kind:     hidden_global_offset_x
      - .offset:         184
        .size:           8
        .value_kind:     hidden_global_offset_y
      - .offset:         192
        .size:           8
        .value_kind:     hidden_global_offset_z
      - .offset:         200
        .size:           2
        .value_kind:     hidden_grid_dims
    .group_segment_fixed_size: 32768
    .kernarg_segment_align: 8
    .kernarg_segment_size: 392
    .language:       OpenCL C
    .language_version:
      - 2
      - 0
    .max_flat_workgroup_size: 1024
    .name:           _ZL24rocblas_symm_hemm_kernelILb0ELb1ELi32E19rocblas_complex_numIdEPKS1_PS1_EvbiiT2_T3_lllS6_lllT4_llli
    .private_segment_fixed_size: 0
    .sgpr_count:     46
    .sgpr_spill_count: 0
    .symbol:         _ZL24rocblas_symm_hemm_kernelILb0ELb1ELi32E19rocblas_complex_numIdEPKS1_PS1_EvbiiT2_T3_lllS6_lllT4_llli.kd
    .uniform_work_group_size: 1
    .uses_dynamic_stack: false
    .vgpr_count:     51
    .vgpr_spill_count: 0
    .wavefront_size: 32
    .workgroup_processor_mode: 1
  - .args:
      - .offset:         0
        .size:           1
        .value_kind:     by_value
      - .offset:         4
        .size:           4
        .value_kind:     by_value
      - .offset:         8
        .size:           4
        .value_kind:     by_value
      - .address_space:  global
        .offset:         16
        .size:           8
        .value_kind:     global_buffer
      - .address_space:  global
        .offset:         24
        .size:           8
        .value_kind:     global_buffer
      - .offset:         32
        .size:           8
        .value_kind:     by_value
      - .offset:         40
        .size:           8
        .value_kind:     by_value
      - .offset:         48
        .size:           8
        .value_kind:     by_value
      - .address_space:  global
        .offset:         56
        .size:           8
        .value_kind:     global_buffer
      - .offset:         64
        .size:           8
        .value_kind:     by_value
      - .offset:         72
        .size:           8
        .value_kind:     by_value
      - .offset:         80
        .size:           8
        .value_kind:     by_value
      - .address_space:  global
        .offset:         88
        .size:           8
        .value_kind:     global_buffer
      - .offset:         96
        .size:           8
        .value_kind:     by_value
      - .offset:         104
        .size:           8
        .value_kind:     by_value
      - .offset:         112
        .size:           8
        .value_kind:     by_value
      - .offset:         120
        .size:           4
        .value_kind:     by_value
      - .offset:         128
        .size:           4
        .value_kind:     hidden_block_count_x
      - .offset:         132
        .size:           4
        .value_kind:     hidden_block_count_y
      - .offset:         136
        .size:           4
        .value_kind:     hidden_block_count_z
      - .offset:         140
        .size:           2
        .value_kind:     hidden_group_size_x
      - .offset:         142
        .size:           2
        .value_kind:     hidden_group_size_y
      - .offset:         144
        .size:           2
        .value_kind:     hidden_group_size_z
      - .offset:         146
        .size:           2
        .value_kind:     hidden_remainder_x
      - .offset:         148
        .size:           2
        .value_kind:     hidden_remainder_y
      - .offset:         150
        .size:           2
        .value_kind:     hidden_remainder_z
      - .offset:         168
        .size:           8
        .value_kind:     hidden_global_offset_x
      - .offset:         176
        .size:           8
        .value_kind:     hidden_global_offset_y
      - .offset:         184
        .size:           8
        .value_kind:     hidden_global_offset_z
      - .offset:         192
        .size:           2
        .value_kind:     hidden_grid_dims
    .group_segment_fixed_size: 16384
    .kernarg_segment_align: 8
    .kernarg_segment_size: 384
    .language:       OpenCL C
    .language_version:
      - 2
      - 0
    .max_flat_workgroup_size: 1024
    .name:           _ZL24rocblas_symm_hemm_kernelILb1ELb0ELi32EPK19rocblas_complex_numIfES3_PS1_EvbiiT2_T3_lllS6_lllT4_llli
    .private_segment_fixed_size: 0
    .sgpr_count:     42
    .sgpr_spill_count: 0
    .symbol:         _ZL24rocblas_symm_hemm_kernelILb1ELb0ELi32EPK19rocblas_complex_numIfES3_PS1_EvbiiT2_T3_lllS6_lllT4_llli.kd
    .uniform_work_group_size: 1
    .uses_dynamic_stack: false
    .vgpr_count:     59
    .vgpr_spill_count: 0
    .wavefront_size: 32
    .workgroup_processor_mode: 1
  - .args:
      - .offset:         0
        .size:           1
        .value_kind:     by_value
      - .offset:         4
        .size:           4
        .value_kind:     by_value
      - .offset:         8
        .size:           4
        .value_kind:     by_value
      - .address_space:  global
        .offset:         16
        .size:           8
        .value_kind:     global_buffer
      - .address_space:  global
        .offset:         24
        .size:           8
        .value_kind:     global_buffer
      - .offset:         32
        .size:           8
        .value_kind:     by_value
      - .offset:         40
        .size:           8
        .value_kind:     by_value
      - .offset:         48
        .size:           8
        .value_kind:     by_value
      - .address_space:  global
        .offset:         56
        .size:           8
        .value_kind:     global_buffer
      - .offset:         64
        .size:           8
        .value_kind:     by_value
      - .offset:         72
        .size:           8
        .value_kind:     by_value
      - .offset:         80
        .size:           8
        .value_kind:     by_value
      - .address_space:  global
        .offset:         88
        .size:           8
        .value_kind:     global_buffer
      - .offset:         96
        .size:           8
        .value_kind:     by_value
      - .offset:         104
        .size:           8
        .value_kind:     by_value
      - .offset:         112
        .size:           8
        .value_kind:     by_value
      - .offset:         120
        .size:           4
        .value_kind:     by_value
      - .offset:         128
        .size:           4
        .value_kind:     hidden_block_count_x
      - .offset:         132
        .size:           4
        .value_kind:     hidden_block_count_y
      - .offset:         136
        .size:           4
        .value_kind:     hidden_block_count_z
      - .offset:         140
        .size:           2
        .value_kind:     hidden_group_size_x
      - .offset:         142
        .size:           2
        .value_kind:     hidden_group_size_y
      - .offset:         144
        .size:           2
        .value_kind:     hidden_group_size_z
      - .offset:         146
        .size:           2
        .value_kind:     hidden_remainder_x
      - .offset:         148
        .size:           2
        .value_kind:     hidden_remainder_y
      - .offset:         150
        .size:           2
        .value_kind:     hidden_remainder_z
      - .offset:         168
        .size:           8
        .value_kind:     hidden_global_offset_x
      - .offset:         176
        .size:           8
        .value_kind:     hidden_global_offset_y
      - .offset:         184
        .size:           8
        .value_kind:     hidden_global_offset_z
      - .offset:         192
        .size:           2
        .value_kind:     hidden_grid_dims
    .group_segment_fixed_size: 16384
    .kernarg_segment_align: 8
    .kernarg_segment_size: 384
    .language:       OpenCL C
    .language_version:
      - 2
      - 0
    .max_flat_workgroup_size: 1024
    .name:           _ZL24rocblas_symm_hemm_kernelILb1ELb1ELi32EPK19rocblas_complex_numIfES3_PS1_EvbiiT2_T3_lllS6_lllT4_llli
    .private_segment_fixed_size: 0
    .sgpr_count:     42
    .sgpr_spill_count: 0
    .symbol:         _ZL24rocblas_symm_hemm_kernelILb1ELb1ELi32EPK19rocblas_complex_numIfES3_PS1_EvbiiT2_T3_lllS6_lllT4_llli.kd
    .uniform_work_group_size: 1
    .uses_dynamic_stack: false
    .vgpr_count:     59
    .vgpr_spill_count: 0
    .wavefront_size: 32
    .workgroup_processor_mode: 1
  - .args:
      - .offset:         0
        .size:           1
        .value_kind:     by_value
      - .offset:         4
        .size:           4
        .value_kind:     by_value
      - .offset:         8
        .size:           4
        .value_kind:     by_value
      - .offset:         12
        .size:           8
        .value_kind:     by_value
      - .address_space:  global
        .offset:         24
        .size:           8
        .value_kind:     global_buffer
      - .offset:         32
        .size:           8
        .value_kind:     by_value
      - .offset:         40
        .size:           8
        .value_kind:     by_value
      - .offset:         48
        .size:           8
        .value_kind:     by_value
      - .address_space:  global
        .offset:         56
        .size:           8
        .value_kind:     global_buffer
      - .offset:         64
        .size:           8
        .value_kind:     by_value
      - .offset:         72
        .size:           8
        .value_kind:     by_value
      - .offset:         80
        .size:           8
        .value_kind:     by_value
      - .address_space:  global
        .offset:         88
        .size:           8
        .value_kind:     global_buffer
      - .offset:         96
        .size:           8
        .value_kind:     by_value
      - .offset:         104
        .size:           8
        .value_kind:     by_value
      - .offset:         112
        .size:           8
        .value_kind:     by_value
      - .offset:         120
        .size:           4
        .value_kind:     by_value
      - .offset:         128
        .size:           4
        .value_kind:     hidden_block_count_x
      - .offset:         132
        .size:           4
        .value_kind:     hidden_block_count_y
      - .offset:         136
        .size:           4
        .value_kind:     hidden_block_count_z
      - .offset:         140
        .size:           2
        .value_kind:     hidden_group_size_x
      - .offset:         142
        .size:           2
        .value_kind:     hidden_group_size_y
      - .offset:         144
        .size:           2
        .value_kind:     hidden_group_size_z
      - .offset:         146
        .size:           2
        .value_kind:     hidden_remainder_x
      - .offset:         148
        .size:           2
        .value_kind:     hidden_remainder_y
      - .offset:         150
        .size:           2
        .value_kind:     hidden_remainder_z
      - .offset:         168
        .size:           8
        .value_kind:     hidden_global_offset_x
      - .offset:         176
        .size:           8
        .value_kind:     hidden_global_offset_y
      - .offset:         184
        .size:           8
        .value_kind:     hidden_global_offset_z
      - .offset:         192
        .size:           2
        .value_kind:     hidden_grid_dims
    .group_segment_fixed_size: 16384
    .kernarg_segment_align: 8
    .kernarg_segment_size: 384
    .language:       OpenCL C
    .language_version:
      - 2
      - 0
    .max_flat_workgroup_size: 1024
    .name:           _ZL24rocblas_symm_hemm_kernelILb1ELb0ELi32E19rocblas_complex_numIfEPKS1_PS1_EvbiiT2_T3_lllS6_lllT4_llli
    .private_segment_fixed_size: 0
    .sgpr_count:     42
    .sgpr_spill_count: 0
    .symbol:         _ZL24rocblas_symm_hemm_kernelILb1ELb0ELi32E19rocblas_complex_numIfEPKS1_PS1_EvbiiT2_T3_lllS6_lllT4_llli.kd
    .uniform_work_group_size: 1
    .uses_dynamic_stack: false
    .vgpr_count:     59
    .vgpr_spill_count: 0
    .wavefront_size: 32
    .workgroup_processor_mode: 1
  - .args:
      - .offset:         0
        .size:           1
        .value_kind:     by_value
      - .offset:         4
        .size:           4
        .value_kind:     by_value
      - .offset:         8
        .size:           4
        .value_kind:     by_value
      - .offset:         12
        .size:           8
        .value_kind:     by_value
      - .address_space:  global
        .offset:         24
        .size:           8
        .value_kind:     global_buffer
      - .offset:         32
        .size:           8
        .value_kind:     by_value
      - .offset:         40
        .size:           8
        .value_kind:     by_value
      - .offset:         48
        .size:           8
        .value_kind:     by_value
      - .address_space:  global
        .offset:         56
        .size:           8
        .value_kind:     global_buffer
      - .offset:         64
        .size:           8
        .value_kind:     by_value
      - .offset:         72
        .size:           8
        .value_kind:     by_value
      - .offset:         80
        .size:           8
        .value_kind:     by_value
      - .address_space:  global
        .offset:         88
        .size:           8
        .value_kind:     global_buffer
      - .offset:         96
        .size:           8
        .value_kind:     by_value
      - .offset:         104
        .size:           8
        .value_kind:     by_value
      - .offset:         112
        .size:           8
        .value_kind:     by_value
      - .offset:         120
        .size:           4
        .value_kind:     by_value
      - .offset:         128
        .size:           4
        .value_kind:     hidden_block_count_x
      - .offset:         132
        .size:           4
        .value_kind:     hidden_block_count_y
      - .offset:         136
        .size:           4
        .value_kind:     hidden_block_count_z
      - .offset:         140
        .size:           2
        .value_kind:     hidden_group_size_x
      - .offset:         142
        .size:           2
        .value_kind:     hidden_group_size_y
      - .offset:         144
        .size:           2
        .value_kind:     hidden_group_size_z
      - .offset:         146
        .size:           2
        .value_kind:     hidden_remainder_x
      - .offset:         148
        .size:           2
        .value_kind:     hidden_remainder_y
      - .offset:         150
        .size:           2
        .value_kind:     hidden_remainder_z
      - .offset:         168
        .size:           8
        .value_kind:     hidden_global_offset_x
      - .offset:         176
        .size:           8
        .value_kind:     hidden_global_offset_y
      - .offset:         184
        .size:           8
        .value_kind:     hidden_global_offset_z
      - .offset:         192
        .size:           2
        .value_kind:     hidden_grid_dims
    .group_segment_fixed_size: 16384
    .kernarg_segment_align: 8
    .kernarg_segment_size: 384
    .language:       OpenCL C
    .language_version:
      - 2
      - 0
    .max_flat_workgroup_size: 1024
    .name:           _ZL24rocblas_symm_hemm_kernelILb1ELb1ELi32E19rocblas_complex_numIfEPKS1_PS1_EvbiiT2_T3_lllS6_lllT4_llli
    .private_segment_fixed_size: 0
    .sgpr_count:     42
    .sgpr_spill_count: 0
    .symbol:         _ZL24rocblas_symm_hemm_kernelILb1ELb1ELi32E19rocblas_complex_numIfEPKS1_PS1_EvbiiT2_T3_lllS6_lllT4_llli.kd
    .uniform_work_group_size: 1
    .uses_dynamic_stack: false
    .vgpr_count:     59
    .vgpr_spill_count: 0
    .wavefront_size: 32
    .workgroup_processor_mode: 1
  - .args:
      - .offset:         0
        .size:           1
        .value_kind:     by_value
      - .offset:         4
        .size:           4
        .value_kind:     by_value
      - .offset:         8
        .size:           4
        .value_kind:     by_value
      - .address_space:  global
        .offset:         16
        .size:           8
        .value_kind:     global_buffer
      - .address_space:  global
        .offset:         24
        .size:           8
        .value_kind:     global_buffer
      - .offset:         32
        .size:           8
        .value_kind:     by_value
      - .offset:         40
        .size:           8
        .value_kind:     by_value
      - .offset:         48
        .size:           8
        .value_kind:     by_value
      - .address_space:  global
        .offset:         56
        .size:           8
        .value_kind:     global_buffer
      - .offset:         64
        .size:           8
        .value_kind:     by_value
      - .offset:         72
        .size:           8
        .value_kind:     by_value
      - .offset:         80
        .size:           8
        .value_kind:     by_value
      - .address_space:  global
        .offset:         88
        .size:           8
        .value_kind:     global_buffer
      - .offset:         96
        .size:           8
        .value_kind:     by_value
      - .offset:         104
        .size:           8
        .value_kind:     by_value
      - .offset:         112
        .size:           8
        .value_kind:     by_value
      - .offset:         120
        .size:           4
        .value_kind:     by_value
      - .offset:         128
        .size:           4
        .value_kind:     hidden_block_count_x
      - .offset:         132
        .size:           4
        .value_kind:     hidden_block_count_y
      - .offset:         136
        .size:           4
        .value_kind:     hidden_block_count_z
      - .offset:         140
        .size:           2
        .value_kind:     hidden_group_size_x
      - .offset:         142
        .size:           2
        .value_kind:     hidden_group_size_y
      - .offset:         144
        .size:           2
        .value_kind:     hidden_group_size_z
      - .offset:         146
        .size:           2
        .value_kind:     hidden_remainder_x
      - .offset:         148
        .size:           2
        .value_kind:     hidden_remainder_y
      - .offset:         150
        .size:           2
        .value_kind:     hidden_remainder_z
      - .offset:         168
        .size:           8
        .value_kind:     hidden_global_offset_x
      - .offset:         176
        .size:           8
        .value_kind:     hidden_global_offset_y
      - .offset:         184
        .size:           8
        .value_kind:     hidden_global_offset_z
      - .offset:         192
        .size:           2
        .value_kind:     hidden_grid_dims
    .group_segment_fixed_size: 32768
    .kernarg_segment_align: 8
    .kernarg_segment_size: 384
    .language:       OpenCL C
    .language_version:
      - 2
      - 0
    .max_flat_workgroup_size: 1024
    .name:           _ZL24rocblas_symm_hemm_kernelILb1ELb0ELi32EPK19rocblas_complex_numIdES3_PS1_EvbiiT2_T3_lllS6_lllT4_llli
    .private_segment_fixed_size: 0
    .sgpr_count:     46
    .sgpr_spill_count: 0
    .symbol:         _ZL24rocblas_symm_hemm_kernelILb1ELb0ELi32EPK19rocblas_complex_numIdES3_PS1_EvbiiT2_T3_lllS6_lllT4_llli.kd
    .uniform_work_group_size: 1
    .uses_dynamic_stack: false
    .vgpr_count:     57
    .vgpr_spill_count: 0
    .wavefront_size: 32
    .workgroup_processor_mode: 1
  - .args:
      - .offset:         0
        .size:           1
        .value_kind:     by_value
      - .offset:         4
        .size:           4
        .value_kind:     by_value
      - .offset:         8
        .size:           4
        .value_kind:     by_value
      - .address_space:  global
        .offset:         16
        .size:           8
        .value_kind:     global_buffer
      - .address_space:  global
        .offset:         24
        .size:           8
        .value_kind:     global_buffer
      - .offset:         32
        .size:           8
        .value_kind:     by_value
      - .offset:         40
        .size:           8
        .value_kind:     by_value
      - .offset:         48
        .size:           8
        .value_kind:     by_value
      - .address_space:  global
        .offset:         56
        .size:           8
        .value_kind:     global_buffer
      - .offset:         64
        .size:           8
        .value_kind:     by_value
      - .offset:         72
        .size:           8
        .value_kind:     by_value
      - .offset:         80
        .size:           8
        .value_kind:     by_value
      - .address_space:  global
        .offset:         88
        .size:           8
        .value_kind:     global_buffer
      - .offset:         96
        .size:           8
        .value_kind:     by_value
      - .offset:         104
        .size:           8
        .value_kind:     by_value
      - .offset:         112
        .size:           8
        .value_kind:     by_value
      - .offset:         120
        .size:           4
        .value_kind:     by_value
      - .offset:         128
        .size:           4
        .value_kind:     hidden_block_count_x
      - .offset:         132
        .size:           4
        .value_kind:     hidden_block_count_y
      - .offset:         136
        .size:           4
        .value_kind:     hidden_block_count_z
      - .offset:         140
        .size:           2
        .value_kind:     hidden_group_size_x
      - .offset:         142
        .size:           2
        .value_kind:     hidden_group_size_y
      - .offset:         144
        .size:           2
        .value_kind:     hidden_group_size_z
      - .offset:         146
        .size:           2
        .value_kind:     hidden_remainder_x
      - .offset:         148
        .size:           2
        .value_kind:     hidden_remainder_y
      - .offset:         150
        .size:           2
        .value_kind:     hidden_remainder_z
      - .offset:         168
        .size:           8
        .value_kind:     hidden_global_offset_x
      - .offset:         176
        .size:           8
        .value_kind:     hidden_global_offset_y
      - .offset:         184
        .size:           8
        .value_kind:     hidden_global_offset_z
      - .offset:         192
        .size:           2
        .value_kind:     hidden_grid_dims
    .group_segment_fixed_size: 32768
    .kernarg_segment_align: 8
    .kernarg_segment_size: 384
    .language:       OpenCL C
    .language_version:
      - 2
      - 0
    .max_flat_workgroup_size: 1024
    .name:           _ZL24rocblas_symm_hemm_kernelILb1ELb1ELi32EPK19rocblas_complex_numIdES3_PS1_EvbiiT2_T3_lllS6_lllT4_llli
    .private_segment_fixed_size: 0
    .sgpr_count:     46
    .sgpr_spill_count: 0
    .symbol:         _ZL24rocblas_symm_hemm_kernelILb1ELb1ELi32EPK19rocblas_complex_numIdES3_PS1_EvbiiT2_T3_lllS6_lllT4_llli.kd
    .uniform_work_group_size: 1
    .uses_dynamic_stack: false
    .vgpr_count:     57
    .vgpr_spill_count: 0
    .wavefront_size: 32
    .workgroup_processor_mode: 1
  - .args:
      - .offset:         0
        .size:           1
        .value_kind:     by_value
      - .offset:         4
        .size:           4
        .value_kind:     by_value
      - .offset:         8
        .size:           4
        .value_kind:     by_value
      - .offset:         16
        .size:           16
        .value_kind:     by_value
      - .address_space:  global
        .offset:         32
        .size:           8
        .value_kind:     global_buffer
      - .offset:         40
        .size:           8
        .value_kind:     by_value
      - .offset:         48
        .size:           8
        .value_kind:     by_value
      - .offset:         56
        .size:           8
        .value_kind:     by_value
      - .address_space:  global
        .offset:         64
        .size:           8
        .value_kind:     global_buffer
      - .offset:         72
        .size:           8
        .value_kind:     by_value
      - .offset:         80
        .size:           8
        .value_kind:     by_value
      - .offset:         88
        .size:           8
        .value_kind:     by_value
      - .address_space:  global
        .offset:         96
        .size:           8
        .value_kind:     global_buffer
      - .offset:         104
        .size:           8
        .value_kind:     by_value
      - .offset:         112
        .size:           8
        .value_kind:     by_value
      - .offset:         120
        .size:           8
        .value_kind:     by_value
      - .offset:         128
        .size:           4
        .value_kind:     by_value
      - .offset:         136
        .size:           4
        .value_kind:     hidden_block_count_x
      - .offset:         140
        .size:           4
        .value_kind:     hidden_block_count_y
      - .offset:         144
        .size:           4
        .value_kind:     hidden_block_count_z
      - .offset:         148
        .size:           2
        .value_kind:     hidden_group_size_x
      - .offset:         150
        .size:           2
        .value_kind:     hidden_group_size_y
      - .offset:         152
        .size:           2
        .value_kind:     hidden_group_size_z
      - .offset:         154
        .size:           2
        .value_kind:     hidden_remainder_x
      - .offset:         156
        .size:           2
        .value_kind:     hidden_remainder_y
      - .offset:         158
        .size:           2
        .value_kind:     hidden_remainder_z
      - .offset:         176
        .size:           8
        .value_kind:     hidden_global_offset_x
      - .offset:         184
        .size:           8
        .value_kind:     hidden_global_offset_y
      - .offset:         192
        .size:           8
        .value_kind:     hidden_global_offset_z
      - .offset:         200
        .size:           2
        .value_kind:     hidden_grid_dims
    .group_segment_fixed_size: 32768
    .kernarg_segment_align: 8
    .kernarg_segment_size: 392
    .language:       OpenCL C
    .language_version:
      - 2
      - 0
    .max_flat_workgroup_size: 1024
    .name:           _ZL24rocblas_symm_hemm_kernelILb1ELb0ELi32E19rocblas_complex_numIdEPKS1_PS1_EvbiiT2_T3_lllS6_lllT4_llli
    .private_segment_fixed_size: 0
    .sgpr_count:     46
    .sgpr_spill_count: 0
    .symbol:         _ZL24rocblas_symm_hemm_kernelILb1ELb0ELi32E19rocblas_complex_numIdEPKS1_PS1_EvbiiT2_T3_lllS6_lllT4_llli.kd
    .uniform_work_group_size: 1
    .uses_dynamic_stack: false
    .vgpr_count:     57
    .vgpr_spill_count: 0
    .wavefront_size: 32
    .workgroup_processor_mode: 1
  - .args:
      - .offset:         0
        .size:           1
        .value_kind:     by_value
      - .offset:         4
        .size:           4
        .value_kind:     by_value
      - .offset:         8
        .size:           4
        .value_kind:     by_value
      - .offset:         16
        .size:           16
        .value_kind:     by_value
      - .address_space:  global
        .offset:         32
        .size:           8
        .value_kind:     global_buffer
      - .offset:         40
        .size:           8
        .value_kind:     by_value
      - .offset:         48
        .size:           8
        .value_kind:     by_value
      - .offset:         56
        .size:           8
        .value_kind:     by_value
      - .address_space:  global
        .offset:         64
        .size:           8
        .value_kind:     global_buffer
      - .offset:         72
        .size:           8
        .value_kind:     by_value
      - .offset:         80
        .size:           8
        .value_kind:     by_value
      - .offset:         88
        .size:           8
        .value_kind:     by_value
      - .address_space:  global
        .offset:         96
        .size:           8
        .value_kind:     global_buffer
      - .offset:         104
        .size:           8
        .value_kind:     by_value
      - .offset:         112
        .size:           8
        .value_kind:     by_value
      - .offset:         120
        .size:           8
        .value_kind:     by_value
      - .offset:         128
        .size:           4
        .value_kind:     by_value
      - .offset:         136
        .size:           4
        .value_kind:     hidden_block_count_x
      - .offset:         140
        .size:           4
        .value_kind:     hidden_block_count_y
      - .offset:         144
        .size:           4
        .value_kind:     hidden_block_count_z
      - .offset:         148
        .size:           2
        .value_kind:     hidden_group_size_x
      - .offset:         150
        .size:           2
        .value_kind:     hidden_group_size_y
      - .offset:         152
        .size:           2
        .value_kind:     hidden_group_size_z
      - .offset:         154
        .size:           2
        .value_kind:     hidden_remainder_x
      - .offset:         156
        .size:           2
        .value_kind:     hidden_remainder_y
      - .offset:         158
        .size:           2
        .value_kind:     hidden_remainder_z
      - .offset:         176
        .size:           8
        .value_kind:     hidden_global_offset_x
      - .offset:         184
        .size:           8
        .value_kind:     hidden_global_offset_y
      - .offset:         192
        .size:           8
        .value_kind:     hidden_global_offset_z
      - .offset:         200
        .size:           2
        .value_kind:     hidden_grid_dims
    .group_segment_fixed_size: 32768
    .kernarg_segment_align: 8
    .kernarg_segment_size: 392
    .language:       OpenCL C
    .language_version:
      - 2
      - 0
    .max_flat_workgroup_size: 1024
    .name:           _ZL24rocblas_symm_hemm_kernelILb1ELb1ELi32E19rocblas_complex_numIdEPKS1_PS1_EvbiiT2_T3_lllS6_lllT4_llli
    .private_segment_fixed_size: 0
    .sgpr_count:     46
    .sgpr_spill_count: 0
    .symbol:         _ZL24rocblas_symm_hemm_kernelILb1ELb1ELi32E19rocblas_complex_numIdEPKS1_PS1_EvbiiT2_T3_lllS6_lllT4_llli.kd
    .uniform_work_group_size: 1
    .uses_dynamic_stack: false
    .vgpr_count:     57
    .vgpr_spill_count: 0
    .wavefront_size: 32
    .workgroup_processor_mode: 1
  - .args:
      - .offset:         0
        .size:           4
        .value_kind:     by_value
      - .offset:         4
        .size:           4
        .value_kind:     by_value
      - .address_space:  global
        .offset:         8
        .size:           8
        .value_kind:     global_buffer
      - .address_space:  global
        .offset:         16
        .size:           8
        .value_kind:     global_buffer
      - .offset:         24
        .size:           8
        .value_kind:     by_value
      - .offset:         32
        .size:           8
        .value_kind:     by_value
      - .offset:         40
        .size:           8
        .value_kind:     by_value
      - .offset:         48
        .size:           4
        .value_kind:     by_value
      - .offset:         56
        .size:           4
        .value_kind:     hidden_block_count_x
      - .offset:         60
        .size:           4
        .value_kind:     hidden_block_count_y
      - .offset:         64
        .size:           4
        .value_kind:     hidden_block_count_z
      - .offset:         68
        .size:           2
        .value_kind:     hidden_group_size_x
      - .offset:         70
        .size:           2
        .value_kind:     hidden_group_size_y
      - .offset:         72
        .size:           2
        .value_kind:     hidden_group_size_z
      - .offset:         74
        .size:           2
        .value_kind:     hidden_remainder_x
      - .offset:         76
        .size:           2
        .value_kind:     hidden_remainder_y
      - .offset:         78
        .size:           2
        .value_kind:     hidden_remainder_z
      - .offset:         96
        .size:           8
        .value_kind:     hidden_global_offset_x
      - .offset:         104
        .size:           8
        .value_kind:     hidden_global_offset_y
      - .offset:         112
        .size:           8
        .value_kind:     hidden_global_offset_z
      - .offset:         120
        .size:           2
        .value_kind:     hidden_grid_dims
    .group_segment_fixed_size: 0
    .kernarg_segment_align: 8
    .kernarg_segment_size: 312
    .language:       OpenCL C
    .language_version:
      - 2
      - 0
    .max_flat_workgroup_size: 1024
    .name:           _ZL25rocblas_symm_scale_kernelILi128ELi8EPKfPKPfEviiT1_T2_llli
    .private_segment_fixed_size: 0
    .sgpr_count:     18
    .sgpr_spill_count: 0
    .symbol:         _ZL25rocblas_symm_scale_kernelILi128ELi8EPKfPKPfEviiT1_T2_llli.kd
    .uniform_work_group_size: 1
    .uses_dynamic_stack: false
    .vgpr_count:     7
    .vgpr_spill_count: 0
    .wavefront_size: 32
    .workgroup_processor_mode: 1
  - .args:
      - .offset:         0
        .size:           1
        .value_kind:     by_value
      - .offset:         4
        .size:           4
        .value_kind:     by_value
      - .offset:         8
        .size:           4
        .value_kind:     by_value
      - .address_space:  global
        .offset:         16
        .size:           8
        .value_kind:     global_buffer
      - .address_space:  global
        .offset:         24
        .size:           8
        .value_kind:     global_buffer
      - .offset:         32
        .size:           8
        .value_kind:     by_value
      - .offset:         40
        .size:           8
        .value_kind:     by_value
      - .offset:         48
        .size:           8
        .value_kind:     by_value
      - .address_space:  global
        .offset:         56
        .size:           8
        .value_kind:     global_buffer
      - .offset:         64
        .size:           8
        .value_kind:     by_value
      - .offset:         72
        .size:           8
        .value_kind:     by_value
      - .offset:         80
        .size:           8
        .value_kind:     by_value
      - .address_space:  global
        .offset:         88
        .size:           8
        .value_kind:     global_buffer
      - .offset:         96
        .size:           8
        .value_kind:     by_value
      - .offset:         104
        .size:           8
        .value_kind:     by_value
      - .offset:         112
        .size:           8
        .value_kind:     by_value
      - .offset:         120
        .size:           4
        .value_kind:     by_value
      - .offset:         128
        .size:           4
        .value_kind:     hidden_block_count_x
      - .offset:         132
        .size:           4
        .value_kind:     hidden_block_count_y
      - .offset:         136
        .size:           4
        .value_kind:     hidden_block_count_z
      - .offset:         140
        .size:           2
        .value_kind:     hidden_group_size_x
      - .offset:         142
        .size:           2
        .value_kind:     hidden_group_size_y
      - .offset:         144
        .size:           2
        .value_kind:     hidden_group_size_z
      - .offset:         146
        .size:           2
        .value_kind:     hidden_remainder_x
      - .offset:         148
        .size:           2
        .value_kind:     hidden_remainder_y
      - .offset:         150
        .size:           2
        .value_kind:     hidden_remainder_z
      - .offset:         168
        .size:           8
        .value_kind:     hidden_global_offset_x
      - .offset:         176
        .size:           8
        .value_kind:     hidden_global_offset_y
      - .offset:         184
        .size:           8
        .value_kind:     hidden_global_offset_z
      - .offset:         192
        .size:           2
        .value_kind:     hidden_grid_dims
    .group_segment_fixed_size: 8192
    .kernarg_segment_align: 8
    .kernarg_segment_size: 384
    .language:       OpenCL C
    .language_version:
      - 2
      - 0
    .max_flat_workgroup_size: 1024
    .name:           _ZL24rocblas_symm_hemm_kernelILb0ELb0ELi32EPKfPKS1_PKPfEvbiiT2_T3_lllS8_lllT4_llli
    .private_segment_fixed_size: 0
    .sgpr_count:     30
    .sgpr_spill_count: 0
    .symbol:         _ZL24rocblas_symm_hemm_kernelILb0ELb0ELi32EPKfPKS1_PKPfEvbiiT2_T3_lllS8_lllT4_llli.kd
    .uniform_work_group_size: 1
    .uses_dynamic_stack: false
    .vgpr_count:     32
    .vgpr_spill_count: 0
    .wavefront_size: 32
    .workgroup_processor_mode: 1
  - .args:
      - .offset:         0
        .size:           1
        .value_kind:     by_value
      - .offset:         4
        .size:           4
        .value_kind:     by_value
      - .offset:         8
        .size:           4
        .value_kind:     by_value
      - .address_space:  global
        .offset:         16
        .size:           8
        .value_kind:     global_buffer
      - .address_space:  global
        .offset:         24
        .size:           8
        .value_kind:     global_buffer
      - .offset:         32
        .size:           8
        .value_kind:     by_value
      - .offset:         40
        .size:           8
        .value_kind:     by_value
      - .offset:         48
        .size:           8
        .value_kind:     by_value
      - .address_space:  global
        .offset:         56
        .size:           8
        .value_kind:     global_buffer
      - .offset:         64
        .size:           8
        .value_kind:     by_value
      - .offset:         72
        .size:           8
        .value_kind:     by_value
      - .offset:         80
        .size:           8
        .value_kind:     by_value
      - .address_space:  global
        .offset:         88
        .size:           8
        .value_kind:     global_buffer
      - .offset:         96
        .size:           8
        .value_kind:     by_value
      - .offset:         104
        .size:           8
        .value_kind:     by_value
      - .offset:         112
        .size:           8
        .value_kind:     by_value
      - .offset:         120
        .size:           4
        .value_kind:     by_value
      - .offset:         128
        .size:           4
        .value_kind:     hidden_block_count_x
      - .offset:         132
        .size:           4
        .value_kind:     hidden_block_count_y
      - .offset:         136
        .size:           4
        .value_kind:     hidden_block_count_z
      - .offset:         140
        .size:           2
        .value_kind:     hidden_group_size_x
      - .offset:         142
        .size:           2
        .value_kind:     hidden_group_size_y
      - .offset:         144
        .size:           2
        .value_kind:     hidden_group_size_z
      - .offset:         146
        .size:           2
        .value_kind:     hidden_remainder_x
      - .offset:         148
        .size:           2
        .value_kind:     hidden_remainder_y
      - .offset:         150
        .size:           2
        .value_kind:     hidden_remainder_z
      - .offset:         168
        .size:           8
        .value_kind:     hidden_global_offset_x
      - .offset:         176
        .size:           8
        .value_kind:     hidden_global_offset_y
      - .offset:         184
        .size:           8
        .value_kind:     hidden_global_offset_z
      - .offset:         192
        .size:           2
        .value_kind:     hidden_grid_dims
    .group_segment_fixed_size: 8192
    .kernarg_segment_align: 8
    .kernarg_segment_size: 384
    .language:       OpenCL C
    .language_version:
      - 2
      - 0
    .max_flat_workgroup_size: 1024
    .name:           _ZL24rocblas_symm_hemm_kernelILb0ELb1ELi32EPKfPKS1_PKPfEvbiiT2_T3_lllS8_lllT4_llli
    .private_segment_fixed_size: 0
    .sgpr_count:     34
    .sgpr_spill_count: 0
    .symbol:         _ZL24rocblas_symm_hemm_kernelILb0ELb1ELi32EPKfPKS1_PKPfEvbiiT2_T3_lllS8_lllT4_llli.kd
    .uniform_work_group_size: 1
    .uses_dynamic_stack: false
    .vgpr_count:     32
    .vgpr_spill_count: 0
    .wavefront_size: 32
    .workgroup_processor_mode: 1
  - .args:
      - .offset:         0
        .size:           4
        .value_kind:     by_value
      - .offset:         4
        .size:           4
        .value_kind:     by_value
      - .offset:         8
        .size:           4
        .value_kind:     by_value
      - .address_space:  global
        .offset:         16
        .size:           8
        .value_kind:     global_buffer
      - .offset:         24
        .size:           8
        .value_kind:     by_value
      - .offset:         32
        .size:           8
        .value_kind:     by_value
      - .offset:         40
        .size:           8
        .value_kind:     by_value
      - .offset:         48
        .size:           4
        .value_kind:     by_value
      - .offset:         56
        .size:           4
        .value_kind:     hidden_block_count_x
      - .offset:         60
        .size:           4
        .value_kind:     hidden_block_count_y
      - .offset:         64
        .size:           4
        .value_kind:     hidden_block_count_z
      - .offset:         68
        .size:           2
        .value_kind:     hidden_group_size_x
      - .offset:         70
        .size:           2
        .value_kind:     hidden_group_size_y
      - .offset:         72
        .size:           2
        .value_kind:     hidden_group_size_z
      - .offset:         74
        .size:           2
        .value_kind:     hidden_remainder_x
      - .offset:         76
        .size:           2
        .value_kind:     hidden_remainder_y
      - .offset:         78
        .size:           2
        .value_kind:     hidden_remainder_z
      - .offset:         96
        .size:           8
        .value_kind:     hidden_global_offset_x
      - .offset:         104
        .size:           8
        .value_kind:     hidden_global_offset_y
      - .offset:         112
        .size:           8
        .value_kind:     hidden_global_offset_z
      - .offset:         120
        .size:           2
        .value_kind:     hidden_grid_dims
    .group_segment_fixed_size: 0
    .kernarg_segment_align: 8
    .kernarg_segment_size: 312
    .language:       OpenCL C
    .language_version:
      - 2
      - 0
    .max_flat_workgroup_size: 1024
    .name:           _ZL25rocblas_symm_scale_kernelILi128ELi8EfPKPfEviiT1_T2_llli
    .private_segment_fixed_size: 0
    .sgpr_count:     18
    .sgpr_spill_count: 0
    .symbol:         _ZL25rocblas_symm_scale_kernelILi128ELi8EfPKPfEviiT1_T2_llli.kd
    .uniform_work_group_size: 1
    .uses_dynamic_stack: false
    .vgpr_count:     7
    .vgpr_spill_count: 0
    .wavefront_size: 32
    .workgroup_processor_mode: 1
  - .args:
      - .offset:         0
        .size:           1
        .value_kind:     by_value
      - .offset:         4
        .size:           4
        .value_kind:     by_value
      - .offset:         8
        .size:           4
        .value_kind:     by_value
      - .offset:         12
        .size:           4
        .value_kind:     by_value
      - .address_space:  global
        .offset:         16
        .size:           8
        .value_kind:     global_buffer
      - .offset:         24
        .size:           8
        .value_kind:     by_value
      - .offset:         32
        .size:           8
        .value_kind:     by_value
      - .offset:         40
        .size:           8
        .value_kind:     by_value
      - .address_space:  global
        .offset:         48
        .size:           8
        .value_kind:     global_buffer
      - .offset:         56
        .size:           8
        .value_kind:     by_value
      - .offset:         64
        .size:           8
        .value_kind:     by_value
      - .offset:         72
        .size:           8
        .value_kind:     by_value
      - .address_space:  global
        .offset:         80
        .size:           8
        .value_kind:     global_buffer
      - .offset:         88
        .size:           8
        .value_kind:     by_value
      - .offset:         96
        .size:           8
        .value_kind:     by_value
      - .offset:         104
        .size:           8
        .value_kind:     by_value
      - .offset:         112
        .size:           4
        .value_kind:     by_value
      - .offset:         120
        .size:           4
        .value_kind:     hidden_block_count_x
      - .offset:         124
        .size:           4
        .value_kind:     hidden_block_count_y
      - .offset:         128
        .size:           4
        .value_kind:     hidden_block_count_z
      - .offset:         132
        .size:           2
        .value_kind:     hidden_group_size_x
      - .offset:         134
        .size:           2
        .value_kind:     hidden_group_size_y
      - .offset:         136
        .size:           2
        .value_kind:     hidden_group_size_z
      - .offset:         138
        .size:           2
        .value_kind:     hidden_remainder_x
      - .offset:         140
        .size:           2
        .value_kind:     hidden_remainder_y
      - .offset:         142
        .size:           2
        .value_kind:     hidden_remainder_z
      - .offset:         160
        .size:           8
        .value_kind:     hidden_global_offset_x
      - .offset:         168
        .size:           8
        .value_kind:     hidden_global_offset_y
      - .offset:         176
        .size:           8
        .value_kind:     hidden_global_offset_z
      - .offset:         184
        .size:           2
        .value_kind:     hidden_grid_dims
    .group_segment_fixed_size: 8192
    .kernarg_segment_align: 8
    .kernarg_segment_size: 376
    .language:       OpenCL C
    .language_version:
      - 2
      - 0
    .max_flat_workgroup_size: 1024
    .name:           _ZL24rocblas_symm_hemm_kernelILb0ELb0ELi32EfPKPKfPKPfEvbiiT2_T3_lllS8_lllT4_llli
    .private_segment_fixed_size: 0
    .sgpr_count:     28
    .sgpr_spill_count: 0
    .symbol:         _ZL24rocblas_symm_hemm_kernelILb0ELb0ELi32EfPKPKfPKPfEvbiiT2_T3_lllS8_lllT4_llli.kd
    .uniform_work_group_size: 1
    .uses_dynamic_stack: false
    .vgpr_count:     32
    .vgpr_spill_count: 0
    .wavefront_size: 32
    .workgroup_processor_mode: 1
  - .args:
      - .offset:         0
        .size:           1
        .value_kind:     by_value
      - .offset:         4
        .size:           4
        .value_kind:     by_value
      - .offset:         8
        .size:           4
        .value_kind:     by_value
      - .offset:         12
        .size:           4
        .value_kind:     by_value
      - .address_space:  global
        .offset:         16
        .size:           8
        .value_kind:     global_buffer
      - .offset:         24
        .size:           8
        .value_kind:     by_value
      - .offset:         32
        .size:           8
        .value_kind:     by_value
      - .offset:         40
        .size:           8
        .value_kind:     by_value
      - .address_space:  global
        .offset:         48
        .size:           8
        .value_kind:     global_buffer
      - .offset:         56
        .size:           8
        .value_kind:     by_value
      - .offset:         64
        .size:           8
        .value_kind:     by_value
      - .offset:         72
        .size:           8
        .value_kind:     by_value
      - .address_space:  global
        .offset:         80
        .size:           8
        .value_kind:     global_buffer
      - .offset:         88
        .size:           8
        .value_kind:     by_value
      - .offset:         96
        .size:           8
        .value_kind:     by_value
      - .offset:         104
        .size:           8
        .value_kind:     by_value
      - .offset:         112
        .size:           4
        .value_kind:     by_value
      - .offset:         120
        .size:           4
        .value_kind:     hidden_block_count_x
      - .offset:         124
        .size:           4
        .value_kind:     hidden_block_count_y
      - .offset:         128
        .size:           4
        .value_kind:     hidden_block_count_z
      - .offset:         132
        .size:           2
        .value_kind:     hidden_group_size_x
      - .offset:         134
        .size:           2
        .value_kind:     hidden_group_size_y
      - .offset:         136
        .size:           2
        .value_kind:     hidden_group_size_z
      - .offset:         138
        .size:           2
        .value_kind:     hidden_remainder_x
      - .offset:         140
        .size:           2
        .value_kind:     hidden_remainder_y
      - .offset:         142
        .size:           2
        .value_kind:     hidden_remainder_z
      - .offset:         160
        .size:           8
        .value_kind:     hidden_global_offset_x
      - .offset:         168
        .size:           8
        .value_kind:     hidden_global_offset_y
      - .offset:         176
        .size:           8
        .value_kind:     hidden_global_offset_z
      - .offset:         184
        .size:           2
        .value_kind:     hidden_grid_dims
    .group_segment_fixed_size: 8192
    .kernarg_segment_align: 8
    .kernarg_segment_size: 376
    .language:       OpenCL C
    .language_version:
      - 2
      - 0
    .max_flat_workgroup_size: 1024
    .name:           _ZL24rocblas_symm_hemm_kernelILb0ELb1ELi32EfPKPKfPKPfEvbiiT2_T3_lllS8_lllT4_llli
    .private_segment_fixed_size: 0
    .sgpr_count:     32
    .sgpr_spill_count: 0
    .symbol:         _ZL24rocblas_symm_hemm_kernelILb0ELb1ELi32EfPKPKfPKPfEvbiiT2_T3_lllS8_lllT4_llli.kd
    .uniform_work_group_size: 1
    .uses_dynamic_stack: false
    .vgpr_count:     32
    .vgpr_spill_count: 0
    .wavefront_size: 32
    .workgroup_processor_mode: 1
  - .args:
      - .offset:         0
        .size:           4
        .value_kind:     by_value
      - .offset:         4
        .size:           4
        .value_kind:     by_value
      - .address_space:  global
        .offset:         8
        .size:           8
        .value_kind:     global_buffer
      - .address_space:  global
        .offset:         16
        .size:           8
        .value_kind:     global_buffer
      - .offset:         24
        .size:           8
        .value_kind:     by_value
      - .offset:         32
        .size:           8
        .value_kind:     by_value
      - .offset:         40
        .size:           8
        .value_kind:     by_value
      - .offset:         48
        .size:           4
        .value_kind:     by_value
      - .offset:         56
        .size:           4
        .value_kind:     hidden_block_count_x
      - .offset:         60
        .size:           4
        .value_kind:     hidden_block_count_y
      - .offset:         64
        .size:           4
        .value_kind:     hidden_block_count_z
      - .offset:         68
        .size:           2
        .value_kind:     hidden_group_size_x
      - .offset:         70
        .size:           2
        .value_kind:     hidden_group_size_y
      - .offset:         72
        .size:           2
        .value_kind:     hidden_group_size_z
      - .offset:         74
        .size:           2
        .value_kind:     hidden_remainder_x
      - .offset:         76
        .size:           2
        .value_kind:     hidden_remainder_y
      - .offset:         78
        .size:           2
        .value_kind:     hidden_remainder_z
      - .offset:         96
        .size:           8
        .value_kind:     hidden_global_offset_x
      - .offset:         104
        .size:           8
        .value_kind:     hidden_global_offset_y
      - .offset:         112
        .size:           8
        .value_kind:     hidden_global_offset_z
      - .offset:         120
        .size:           2
        .value_kind:     hidden_grid_dims
    .group_segment_fixed_size: 0
    .kernarg_segment_align: 8
    .kernarg_segment_size: 312
    .language:       OpenCL C
    .language_version:
      - 2
      - 0
    .max_flat_workgroup_size: 1024
    .name:           _ZL25rocblas_symm_scale_kernelILi128ELi8EPKdPKPdEviiT1_T2_llli
    .private_segment_fixed_size: 0
    .sgpr_count:     19
    .sgpr_spill_count: 0
    .symbol:         _ZL25rocblas_symm_scale_kernelILi128ELi8EPKdPKPdEviiT1_T2_llli.kd
    .uniform_work_group_size: 1
    .uses_dynamic_stack: false
    .vgpr_count:     7
    .vgpr_spill_count: 0
    .wavefront_size: 32
    .workgroup_processor_mode: 1
  - .args:
      - .offset:         0
        .size:           1
        .value_kind:     by_value
      - .offset:         4
        .size:           4
        .value_kind:     by_value
      - .offset:         8
        .size:           4
        .value_kind:     by_value
      - .address_space:  global
        .offset:         16
        .size:           8
        .value_kind:     global_buffer
      - .address_space:  global
        .offset:         24
        .size:           8
        .value_kind:     global_buffer
      - .offset:         32
        .size:           8
        .value_kind:     by_value
      - .offset:         40
        .size:           8
        .value_kind:     by_value
      - .offset:         48
        .size:           8
        .value_kind:     by_value
      - .address_space:  global
        .offset:         56
        .size:           8
        .value_kind:     global_buffer
      - .offset:         64
        .size:           8
        .value_kind:     by_value
      - .offset:         72
        .size:           8
        .value_kind:     by_value
      - .offset:         80
        .size:           8
        .value_kind:     by_value
      - .address_space:  global
        .offset:         88
        .size:           8
        .value_kind:     global_buffer
      - .offset:         96
        .size:           8
        .value_kind:     by_value
      - .offset:         104
        .size:           8
        .value_kind:     by_value
      - .offset:         112
        .size:           8
        .value_kind:     by_value
      - .offset:         120
        .size:           4
        .value_kind:     by_value
      - .offset:         128
        .size:           4
        .value_kind:     hidden_block_count_x
      - .offset:         132
        .size:           4
        .value_kind:     hidden_block_count_y
      - .offset:         136
        .size:           4
        .value_kind:     hidden_block_count_z
      - .offset:         140
        .size:           2
        .value_kind:     hidden_group_size_x
      - .offset:         142
        .size:           2
        .value_kind:     hidden_group_size_y
      - .offset:         144
        .size:           2
        .value_kind:     hidden_group_size_z
      - .offset:         146
        .size:           2
        .value_kind:     hidden_remainder_x
      - .offset:         148
        .size:           2
        .value_kind:     hidden_remainder_y
      - .offset:         150
        .size:           2
        .value_kind:     hidden_remainder_z
      - .offset:         168
        .size:           8
        .value_kind:     hidden_global_offset_x
      - .offset:         176
        .size:           8
        .value_kind:     hidden_global_offset_y
      - .offset:         184
        .size:           8
        .value_kind:     hidden_global_offset_z
      - .offset:         192
        .size:           2
        .value_kind:     hidden_grid_dims
    .group_segment_fixed_size: 16384
    .kernarg_segment_align: 8
    .kernarg_segment_size: 384
    .language:       OpenCL C
    .language_version:
      - 2
      - 0
    .max_flat_workgroup_size: 1024
    .name:           _ZL24rocblas_symm_hemm_kernelILb0ELb0ELi32EPKdPKS1_PKPdEvbiiT2_T3_lllS8_lllT4_llli
    .private_segment_fixed_size: 0
    .sgpr_count:     32
    .sgpr_spill_count: 0
    .symbol:         _ZL24rocblas_symm_hemm_kernelILb0ELb0ELi32EPKdPKS1_PKPdEvbiiT2_T3_lllS8_lllT4_llli.kd
    .uniform_work_group_size: 1
    .uses_dynamic_stack: false
    .vgpr_count:     33
    .vgpr_spill_count: 0
    .wavefront_size: 32
    .workgroup_processor_mode: 1
  - .args:
      - .offset:         0
        .size:           1
        .value_kind:     by_value
      - .offset:         4
        .size:           4
        .value_kind:     by_value
      - .offset:         8
        .size:           4
        .value_kind:     by_value
      - .address_space:  global
        .offset:         16
        .size:           8
        .value_kind:     global_buffer
      - .address_space:  global
        .offset:         24
        .size:           8
        .value_kind:     global_buffer
      - .offset:         32
        .size:           8
        .value_kind:     by_value
      - .offset:         40
        .size:           8
        .value_kind:     by_value
      - .offset:         48
        .size:           8
        .value_kind:     by_value
      - .address_space:  global
        .offset:         56
        .size:           8
        .value_kind:     global_buffer
      - .offset:         64
        .size:           8
        .value_kind:     by_value
      - .offset:         72
        .size:           8
        .value_kind:     by_value
      - .offset:         80
        .size:           8
        .value_kind:     by_value
      - .address_space:  global
        .offset:         88
        .size:           8
        .value_kind:     global_buffer
      - .offset:         96
        .size:           8
        .value_kind:     by_value
      - .offset:         104
        .size:           8
        .value_kind:     by_value
      - .offset:         112
        .size:           8
        .value_kind:     by_value
      - .offset:         120
        .size:           4
        .value_kind:     by_value
      - .offset:         128
        .size:           4
        .value_kind:     hidden_block_count_x
      - .offset:         132
        .size:           4
        .value_kind:     hidden_block_count_y
      - .offset:         136
        .size:           4
        .value_kind:     hidden_block_count_z
      - .offset:         140
        .size:           2
        .value_kind:     hidden_group_size_x
      - .offset:         142
        .size:           2
        .value_kind:     hidden_group_size_y
      - .offset:         144
        .size:           2
        .value_kind:     hidden_group_size_z
      - .offset:         146
        .size:           2
        .value_kind:     hidden_remainder_x
      - .offset:         148
        .size:           2
        .value_kind:     hidden_remainder_y
      - .offset:         150
        .size:           2
        .value_kind:     hidden_remainder_z
      - .offset:         168
        .size:           8
        .value_kind:     hidden_global_offset_x
      - .offset:         176
        .size:           8
        .value_kind:     hidden_global_offset_y
      - .offset:         184
        .size:           8
        .value_kind:     hidden_global_offset_z
      - .offset:         192
        .size:           2
        .value_kind:     hidden_grid_dims
    .group_segment_fixed_size: 16384
    .kernarg_segment_align: 8
    .kernarg_segment_size: 384
    .language:       OpenCL C
    .language_version:
      - 2
      - 0
    .max_flat_workgroup_size: 1024
    .name:           _ZL24rocblas_symm_hemm_kernelILb0ELb1ELi32EPKdPKS1_PKPdEvbiiT2_T3_lllS8_lllT4_llli
    .private_segment_fixed_size: 0
    .sgpr_count:     38
    .sgpr_spill_count: 0
    .symbol:         _ZL24rocblas_symm_hemm_kernelILb0ELb1ELi32EPKdPKS1_PKPdEvbiiT2_T3_lllS8_lllT4_llli.kd
    .uniform_work_group_size: 1
    .uses_dynamic_stack: false
    .vgpr_count:     33
    .vgpr_spill_count: 0
    .wavefront_size: 32
    .workgroup_processor_mode: 1
  - .args:
      - .offset:         0
        .size:           4
        .value_kind:     by_value
      - .offset:         4
        .size:           4
        .value_kind:     by_value
      - .offset:         8
        .size:           8
        .value_kind:     by_value
      - .address_space:  global
        .offset:         16
        .size:           8
        .value_kind:     global_buffer
      - .offset:         24
        .size:           8
        .value_kind:     by_value
      - .offset:         32
        .size:           8
        .value_kind:     by_value
      - .offset:         40
        .size:           8
        .value_kind:     by_value
      - .offset:         48
        .size:           4
        .value_kind:     by_value
      - .offset:         56
        .size:           4
        .value_kind:     hidden_block_count_x
      - .offset:         60
        .size:           4
        .value_kind:     hidden_block_count_y
      - .offset:         64
        .size:           4
        .value_kind:     hidden_block_count_z
      - .offset:         68
        .size:           2
        .value_kind:     hidden_group_size_x
      - .offset:         70
        .size:           2
        .value_kind:     hidden_group_size_y
      - .offset:         72
        .size:           2
        .value_kind:     hidden_group_size_z
      - .offset:         74
        .size:           2
        .value_kind:     hidden_remainder_x
      - .offset:         76
        .size:           2
        .value_kind:     hidden_remainder_y
      - .offset:         78
        .size:           2
        .value_kind:     hidden_remainder_z
      - .offset:         96
        .size:           8
        .value_kind:     hidden_global_offset_x
      - .offset:         104
        .size:           8
        .value_kind:     hidden_global_offset_y
      - .offset:         112
        .size:           8
        .value_kind:     hidden_global_offset_z
      - .offset:         120
        .size:           2
        .value_kind:     hidden_grid_dims
    .group_segment_fixed_size: 0
    .kernarg_segment_align: 8
    .kernarg_segment_size: 312
    .language:       OpenCL C
    .language_version:
      - 2
      - 0
    .max_flat_workgroup_size: 1024
    .name:           _ZL25rocblas_symm_scale_kernelILi128ELi8EdPKPdEviiT1_T2_llli
    .private_segment_fixed_size: 0
    .sgpr_count:     19
    .sgpr_spill_count: 0
    .symbol:         _ZL25rocblas_symm_scale_kernelILi128ELi8EdPKPdEviiT1_T2_llli.kd
    .uniform_work_group_size: 1
    .uses_dynamic_stack: false
    .vgpr_count:     7
    .vgpr_spill_count: 0
    .wavefront_size: 32
    .workgroup_processor_mode: 1
  - .args:
      - .offset:         0
        .size:           1
        .value_kind:     by_value
      - .offset:         4
        .size:           4
        .value_kind:     by_value
      - .offset:         8
        .size:           4
        .value_kind:     by_value
      - .offset:         16
        .size:           8
        .value_kind:     by_value
      - .address_space:  global
        .offset:         24
        .size:           8
        .value_kind:     global_buffer
      - .offset:         32
        .size:           8
        .value_kind:     by_value
      - .offset:         40
        .size:           8
        .value_kind:     by_value
      - .offset:         48
        .size:           8
        .value_kind:     by_value
      - .address_space:  global
        .offset:         56
        .size:           8
        .value_kind:     global_buffer
      - .offset:         64
        .size:           8
        .value_kind:     by_value
      - .offset:         72
        .size:           8
        .value_kind:     by_value
      - .offset:         80
        .size:           8
        .value_kind:     by_value
      - .address_space:  global
        .offset:         88
        .size:           8
        .value_kind:     global_buffer
      - .offset:         96
        .size:           8
        .value_kind:     by_value
      - .offset:         104
        .size:           8
        .value_kind:     by_value
      - .offset:         112
        .size:           8
        .value_kind:     by_value
      - .offset:         120
        .size:           4
        .value_kind:     by_value
      - .offset:         128
        .size:           4
        .value_kind:     hidden_block_count_x
      - .offset:         132
        .size:           4
        .value_kind:     hidden_block_count_y
      - .offset:         136
        .size:           4
        .value_kind:     hidden_block_count_z
      - .offset:         140
        .size:           2
        .value_kind:     hidden_group_size_x
      - .offset:         142
        .size:           2
        .value_kind:     hidden_group_size_y
      - .offset:         144
        .size:           2
        .value_kind:     hidden_group_size_z
      - .offset:         146
        .size:           2
        .value_kind:     hidden_remainder_x
      - .offset:         148
        .size:           2
        .value_kind:     hidden_remainder_y
      - .offset:         150
        .size:           2
        .value_kind:     hidden_remainder_z
      - .offset:         168
        .size:           8
        .value_kind:     hidden_global_offset_x
      - .offset:         176
        .size:           8
        .value_kind:     hidden_global_offset_y
      - .offset:         184
        .size:           8
        .value_kind:     hidden_global_offset_z
      - .offset:         192
        .size:           2
        .value_kind:     hidden_grid_dims
    .group_segment_fixed_size: 16384
    .kernarg_segment_align: 8
    .kernarg_segment_size: 384
    .language:       OpenCL C
    .language_version:
      - 2
      - 0
    .max_flat_workgroup_size: 1024
    .name:           _ZL24rocblas_symm_hemm_kernelILb0ELb0ELi32EdPKPKdPKPdEvbiiT2_T3_lllS8_lllT4_llli
    .private_segment_fixed_size: 0
    .sgpr_count:     32
    .sgpr_spill_count: 0
    .symbol:         _ZL24rocblas_symm_hemm_kernelILb0ELb0ELi32EdPKPKdPKPdEvbiiT2_T3_lllS8_lllT4_llli.kd
    .uniform_work_group_size: 1
    .uses_dynamic_stack: false
    .vgpr_count:     33
    .vgpr_spill_count: 0
    .wavefront_size: 32
    .workgroup_processor_mode: 1
  - .args:
      - .offset:         0
        .size:           1
        .value_kind:     by_value
      - .offset:         4
        .size:           4
        .value_kind:     by_value
      - .offset:         8
        .size:           4
        .value_kind:     by_value
      - .offset:         16
        .size:           8
        .value_kind:     by_value
      - .address_space:  global
        .offset:         24
        .size:           8
        .value_kind:     global_buffer
      - .offset:         32
        .size:           8
        .value_kind:     by_value
      - .offset:         40
        .size:           8
        .value_kind:     by_value
      - .offset:         48
        .size:           8
        .value_kind:     by_value
      - .address_space:  global
        .offset:         56
        .size:           8
        .value_kind:     global_buffer
      - .offset:         64
        .size:           8
        .value_kind:     by_value
      - .offset:         72
        .size:           8
        .value_kind:     by_value
      - .offset:         80
        .size:           8
        .value_kind:     by_value
      - .address_space:  global
        .offset:         88
        .size:           8
        .value_kind:     global_buffer
      - .offset:         96
        .size:           8
        .value_kind:     by_value
      - .offset:         104
        .size:           8
        .value_kind:     by_value
      - .offset:         112
        .size:           8
        .value_kind:     by_value
      - .offset:         120
        .size:           4
        .value_kind:     by_value
      - .offset:         128
        .size:           4
        .value_kind:     hidden_block_count_x
      - .offset:         132
        .size:           4
        .value_kind:     hidden_block_count_y
      - .offset:         136
        .size:           4
        .value_kind:     hidden_block_count_z
      - .offset:         140
        .size:           2
        .value_kind:     hidden_group_size_x
      - .offset:         142
        .size:           2
        .value_kind:     hidden_group_size_y
      - .offset:         144
        .size:           2
        .value_kind:     hidden_group_size_z
      - .offset:         146
        .size:           2
        .value_kind:     hidden_remainder_x
      - .offset:         148
        .size:           2
        .value_kind:     hidden_remainder_y
      - .offset:         150
        .size:           2
        .value_kind:     hidden_remainder_z
      - .offset:         168
        .size:           8
        .value_kind:     hidden_global_offset_x
      - .offset:         176
        .size:           8
        .value_kind:     hidden_global_offset_y
      - .offset:         184
        .size:           8
        .value_kind:     hidden_global_offset_z
      - .offset:         192
        .size:           2
        .value_kind:     hidden_grid_dims
    .group_segment_fixed_size: 16384
    .kernarg_segment_align: 8
    .kernarg_segment_size: 384
    .language:       OpenCL C
    .language_version:
      - 2
      - 0
    .max_flat_workgroup_size: 1024
    .name:           _ZL24rocblas_symm_hemm_kernelILb0ELb1ELi32EdPKPKdPKPdEvbiiT2_T3_lllS8_lllT4_llli
    .private_segment_fixed_size: 0
    .sgpr_count:     38
    .sgpr_spill_count: 0
    .symbol:         _ZL24rocblas_symm_hemm_kernelILb0ELb1ELi32EdPKPKdPKPdEvbiiT2_T3_lllS8_lllT4_llli.kd
    .uniform_work_group_size: 1
    .uses_dynamic_stack: false
    .vgpr_count:     33
    .vgpr_spill_count: 0
    .wavefront_size: 32
    .workgroup_processor_mode: 1
  - .args:
      - .offset:         0
        .size:           4
        .value_kind:     by_value
      - .offset:         4
        .size:           4
        .value_kind:     by_value
      - .address_space:  global
        .offset:         8
        .size:           8
        .value_kind:     global_buffer
      - .address_space:  global
        .offset:         16
        .size:           8
        .value_kind:     global_buffer
      - .offset:         24
        .size:           8
        .value_kind:     by_value
      - .offset:         32
        .size:           8
        .value_kind:     by_value
      - .offset:         40
        .size:           8
        .value_kind:     by_value
      - .offset:         48
        .size:           4
        .value_kind:     by_value
      - .offset:         56
        .size:           4
        .value_kind:     hidden_block_count_x
      - .offset:         60
        .size:           4
        .value_kind:     hidden_block_count_y
      - .offset:         64
        .size:           4
        .value_kind:     hidden_block_count_z
      - .offset:         68
        .size:           2
        .value_kind:     hidden_group_size_x
      - .offset:         70
        .size:           2
        .value_kind:     hidden_group_size_y
      - .offset:         72
        .size:           2
        .value_kind:     hidden_group_size_z
      - .offset:         74
        .size:           2
        .value_kind:     hidden_remainder_x
      - .offset:         76
        .size:           2
        .value_kind:     hidden_remainder_y
      - .offset:         78
        .size:           2
        .value_kind:     hidden_remainder_z
      - .offset:         96
        .size:           8
        .value_kind:     hidden_global_offset_x
      - .offset:         104
        .size:           8
        .value_kind:     hidden_global_offset_y
      - .offset:         112
        .size:           8
        .value_kind:     hidden_global_offset_z
      - .offset:         120
        .size:           2
        .value_kind:     hidden_grid_dims
    .group_segment_fixed_size: 0
    .kernarg_segment_align: 8
    .kernarg_segment_size: 312
    .language:       OpenCL C
    .language_version:
      - 2
      - 0
    .max_flat_workgroup_size: 1024
    .name:           _ZL25rocblas_symm_scale_kernelILi128ELi8EPK19rocblas_complex_numIfEPKPS1_EviiT1_T2_llli
    .private_segment_fixed_size: 0
    .sgpr_count:     19
    .sgpr_spill_count: 0
    .symbol:         _ZL25rocblas_symm_scale_kernelILi128ELi8EPK19rocblas_complex_numIfEPKPS1_EviiT1_T2_llli.kd
    .uniform_work_group_size: 1
    .uses_dynamic_stack: false
    .vgpr_count:     8
    .vgpr_spill_count: 0
    .wavefront_size: 32
    .workgroup_processor_mode: 1
  - .args:
      - .offset:         0
        .size:           1
        .value_kind:     by_value
      - .offset:         4
        .size:           4
        .value_kind:     by_value
      - .offset:         8
        .size:           4
        .value_kind:     by_value
      - .address_space:  global
        .offset:         16
        .size:           8
        .value_kind:     global_buffer
      - .address_space:  global
        .offset:         24
        .size:           8
        .value_kind:     global_buffer
      - .offset:         32
        .size:           8
        .value_kind:     by_value
      - .offset:         40
        .size:           8
        .value_kind:     by_value
      - .offset:         48
        .size:           8
        .value_kind:     by_value
      - .address_space:  global
        .offset:         56
        .size:           8
        .value_kind:     global_buffer
      - .offset:         64
        .size:           8
        .value_kind:     by_value
      - .offset:         72
        .size:           8
        .value_kind:     by_value
      - .offset:         80
        .size:           8
        .value_kind:     by_value
      - .address_space:  global
        .offset:         88
        .size:           8
        .value_kind:     global_buffer
      - .offset:         96
        .size:           8
        .value_kind:     by_value
      - .offset:         104
        .size:           8
        .value_kind:     by_value
      - .offset:         112
        .size:           8
        .value_kind:     by_value
      - .offset:         120
        .size:           4
        .value_kind:     by_value
      - .offset:         128
        .size:           4
        .value_kind:     hidden_block_count_x
      - .offset:         132
        .size:           4
        .value_kind:     hidden_block_count_y
      - .offset:         136
        .size:           4
        .value_kind:     hidden_block_count_z
      - .offset:         140
        .size:           2
        .value_kind:     hidden_group_size_x
      - .offset:         142
        .size:           2
        .value_kind:     hidden_group_size_y
      - .offset:         144
        .size:           2
        .value_kind:     hidden_group_size_z
      - .offset:         146
        .size:           2
        .value_kind:     hidden_remainder_x
      - .offset:         148
        .size:           2
        .value_kind:     hidden_remainder_y
      - .offset:         150
        .size:           2
        .value_kind:     hidden_remainder_z
      - .offset:         168
        .size:           8
        .value_kind:     hidden_global_offset_x
      - .offset:         176
        .size:           8
        .value_kind:     hidden_global_offset_y
      - .offset:         184
        .size:           8
        .value_kind:     hidden_global_offset_z
      - .offset:         192
        .size:           2
        .value_kind:     hidden_grid_dims
    .group_segment_fixed_size: 16384
    .kernarg_segment_align: 8
    .kernarg_segment_size: 384
    .language:       OpenCL C
    .language_version:
      - 2
      - 0
    .max_flat_workgroup_size: 1024
    .name:           _ZL24rocblas_symm_hemm_kernelILb0ELb0ELi32EPK19rocblas_complex_numIfEPKS3_PKPS1_EvbiiT2_T3_lllSA_lllT4_llli
    .private_segment_fixed_size: 0
    .sgpr_count:     32
    .sgpr_spill_count: 0
    .symbol:         _ZL24rocblas_symm_hemm_kernelILb0ELb0ELi32EPK19rocblas_complex_numIfEPKS3_PKPS1_EvbiiT2_T3_lllSA_lllT4_llli.kd
    .uniform_work_group_size: 1
    .uses_dynamic_stack: false
    .vgpr_count:     53
    .vgpr_spill_count: 0
    .wavefront_size: 32
    .workgroup_processor_mode: 1
  - .args:
      - .offset:         0
        .size:           1
        .value_kind:     by_value
      - .offset:         4
        .size:           4
        .value_kind:     by_value
      - .offset:         8
        .size:           4
        .value_kind:     by_value
      - .address_space:  global
        .offset:         16
        .size:           8
        .value_kind:     global_buffer
      - .address_space:  global
        .offset:         24
        .size:           8
        .value_kind:     global_buffer
      - .offset:         32
        .size:           8
        .value_kind:     by_value
      - .offset:         40
        .size:           8
        .value_kind:     by_value
      - .offset:         48
        .size:           8
        .value_kind:     by_value
      - .address_space:  global
        .offset:         56
        .size:           8
        .value_kind:     global_buffer
      - .offset:         64
        .size:           8
        .value_kind:     by_value
      - .offset:         72
        .size:           8
        .value_kind:     by_value
      - .offset:         80
        .size:           8
        .value_kind:     by_value
      - .address_space:  global
        .offset:         88
        .size:           8
        .value_kind:     global_buffer
      - .offset:         96
        .size:           8
        .value_kind:     by_value
      - .offset:         104
        .size:           8
        .value_kind:     by_value
      - .offset:         112
        .size:           8
        .value_kind:     by_value
      - .offset:         120
        .size:           4
        .value_kind:     by_value
      - .offset:         128
        .size:           4
        .value_kind:     hidden_block_count_x
      - .offset:         132
        .size:           4
        .value_kind:     hidden_block_count_y
      - .offset:         136
        .size:           4
        .value_kind:     hidden_block_count_z
      - .offset:         140
        .size:           2
        .value_kind:     hidden_group_size_x
      - .offset:         142
        .size:           2
        .value_kind:     hidden_group_size_y
      - .offset:         144
        .size:           2
        .value_kind:     hidden_group_size_z
      - .offset:         146
        .size:           2
        .value_kind:     hidden_remainder_x
      - .offset:         148
        .size:           2
        .value_kind:     hidden_remainder_y
      - .offset:         150
        .size:           2
        .value_kind:     hidden_remainder_z
      - .offset:         168
        .size:           8
        .value_kind:     hidden_global_offset_x
      - .offset:         176
        .size:           8
        .value_kind:     hidden_global_offset_y
      - .offset:         184
        .size:           8
        .value_kind:     hidden_global_offset_z
      - .offset:         192
        .size:           2
        .value_kind:     hidden_grid_dims
    .group_segment_fixed_size: 16384
    .kernarg_segment_align: 8
    .kernarg_segment_size: 384
    .language:       OpenCL C
    .language_version:
      - 2
      - 0
    .max_flat_workgroup_size: 1024
    .name:           _ZL24rocblas_symm_hemm_kernelILb0ELb1ELi32EPK19rocblas_complex_numIfEPKS3_PKPS1_EvbiiT2_T3_lllSA_lllT4_llli
    .private_segment_fixed_size: 0
    .sgpr_count:     38
    .sgpr_spill_count: 0
    .symbol:         _ZL24rocblas_symm_hemm_kernelILb0ELb1ELi32EPK19rocblas_complex_numIfEPKS3_PKPS1_EvbiiT2_T3_lllSA_lllT4_llli.kd
    .uniform_work_group_size: 1
    .uses_dynamic_stack: false
    .vgpr_count:     53
    .vgpr_spill_count: 0
    .wavefront_size: 32
    .workgroup_processor_mode: 1
  - .args:
      - .offset:         0
        .size:           4
        .value_kind:     by_value
      - .offset:         4
        .size:           4
        .value_kind:     by_value
      - .offset:         8
        .size:           8
        .value_kind:     by_value
      - .address_space:  global
        .offset:         16
        .size:           8
        .value_kind:     global_buffer
      - .offset:         24
        .size:           8
        .value_kind:     by_value
      - .offset:         32
        .size:           8
        .value_kind:     by_value
      - .offset:         40
        .size:           8
        .value_kind:     by_value
      - .offset:         48
        .size:           4
        .value_kind:     by_value
      - .offset:         56
        .size:           4
        .value_kind:     hidden_block_count_x
      - .offset:         60
        .size:           4
        .value_kind:     hidden_block_count_y
      - .offset:         64
        .size:           4
        .value_kind:     hidden_block_count_z
      - .offset:         68
        .size:           2
        .value_kind:     hidden_group_size_x
      - .offset:         70
        .size:           2
        .value_kind:     hidden_group_size_y
      - .offset:         72
        .size:           2
        .value_kind:     hidden_group_size_z
      - .offset:         74
        .size:           2
        .value_kind:     hidden_remainder_x
      - .offset:         76
        .size:           2
        .value_kind:     hidden_remainder_y
      - .offset:         78
        .size:           2
        .value_kind:     hidden_remainder_z
      - .offset:         96
        .size:           8
        .value_kind:     hidden_global_offset_x
      - .offset:         104
        .size:           8
        .value_kind:     hidden_global_offset_y
      - .offset:         112
        .size:           8
        .value_kind:     hidden_global_offset_z
      - .offset:         120
        .size:           2
        .value_kind:     hidden_grid_dims
    .group_segment_fixed_size: 0
    .kernarg_segment_align: 8
    .kernarg_segment_size: 312
    .language:       OpenCL C
    .language_version:
      - 2
      - 0
    .max_flat_workgroup_size: 1024
    .name:           _ZL25rocblas_symm_scale_kernelILi128ELi8E19rocblas_complex_numIfEPKPS1_EviiT1_T2_llli
    .private_segment_fixed_size: 0
    .sgpr_count:     18
    .sgpr_spill_count: 0
    .symbol:         _ZL25rocblas_symm_scale_kernelILi128ELi8E19rocblas_complex_numIfEPKPS1_EviiT1_T2_llli.kd
    .uniform_work_group_size: 1
    .uses_dynamic_stack: false
    .vgpr_count:     8
    .vgpr_spill_count: 0
    .wavefront_size: 32
    .workgroup_processor_mode: 1
  - .args:
      - .offset:         0
        .size:           1
        .value_kind:     by_value
      - .offset:         4
        .size:           4
        .value_kind:     by_value
      - .offset:         8
        .size:           4
        .value_kind:     by_value
      - .offset:         12
        .size:           8
        .value_kind:     by_value
      - .address_space:  global
        .offset:         24
        .size:           8
        .value_kind:     global_buffer
      - .offset:         32
        .size:           8
        .value_kind:     by_value
      - .offset:         40
        .size:           8
        .value_kind:     by_value
      - .offset:         48
        .size:           8
        .value_kind:     by_value
      - .address_space:  global
        .offset:         56
        .size:           8
        .value_kind:     global_buffer
      - .offset:         64
        .size:           8
        .value_kind:     by_value
      - .offset:         72
        .size:           8
        .value_kind:     by_value
      - .offset:         80
        .size:           8
        .value_kind:     by_value
      - .address_space:  global
        .offset:         88
        .size:           8
        .value_kind:     global_buffer
      - .offset:         96
        .size:           8
        .value_kind:     by_value
      - .offset:         104
        .size:           8
        .value_kind:     by_value
      - .offset:         112
        .size:           8
        .value_kind:     by_value
      - .offset:         120
        .size:           4
        .value_kind:     by_value
      - .offset:         128
        .size:           4
        .value_kind:     hidden_block_count_x
      - .offset:         132
        .size:           4
        .value_kind:     hidden_block_count_y
      - .offset:         136
        .size:           4
        .value_kind:     hidden_block_count_z
      - .offset:         140
        .size:           2
        .value_kind:     hidden_group_size_x
      - .offset:         142
        .size:           2
        .value_kind:     hidden_group_size_y
      - .offset:         144
        .size:           2
        .value_kind:     hidden_group_size_z
      - .offset:         146
        .size:           2
        .value_kind:     hidden_remainder_x
      - .offset:         148
        .size:           2
        .value_kind:     hidden_remainder_y
      - .offset:         150
        .size:           2
        .value_kind:     hidden_remainder_z
      - .offset:         168
        .size:           8
        .value_kind:     hidden_global_offset_x
      - .offset:         176
        .size:           8
        .value_kind:     hidden_global_offset_y
      - .offset:         184
        .size:           8
        .value_kind:     hidden_global_offset_z
      - .offset:         192
        .size:           2
        .value_kind:     hidden_grid_dims
    .group_segment_fixed_size: 16384
    .kernarg_segment_align: 8
    .kernarg_segment_size: 384
    .language:       OpenCL C
    .language_version:
      - 2
      - 0
    .max_flat_workgroup_size: 1024
    .name:           _ZL24rocblas_symm_hemm_kernelILb0ELb0ELi32E19rocblas_complex_numIfEPKPKS1_PKPS1_EvbiiT2_T3_lllSA_lllT4_llli
    .private_segment_fixed_size: 0
    .sgpr_count:     32
    .sgpr_spill_count: 0
    .symbol:         _ZL24rocblas_symm_hemm_kernelILb0ELb0ELi32E19rocblas_complex_numIfEPKPKS1_PKPS1_EvbiiT2_T3_lllSA_lllT4_llli.kd
    .uniform_work_group_size: 1
    .uses_dynamic_stack: false
    .vgpr_count:     53
    .vgpr_spill_count: 0
    .wavefront_size: 32
    .workgroup_processor_mode: 1
  - .args:
      - .offset:         0
        .size:           1
        .value_kind:     by_value
      - .offset:         4
        .size:           4
        .value_kind:     by_value
      - .offset:         8
        .size:           4
        .value_kind:     by_value
      - .offset:         12
        .size:           8
        .value_kind:     by_value
      - .address_space:  global
        .offset:         24
        .size:           8
        .value_kind:     global_buffer
      - .offset:         32
        .size:           8
        .value_kind:     by_value
      - .offset:         40
        .size:           8
        .value_kind:     by_value
      - .offset:         48
        .size:           8
        .value_kind:     by_value
      - .address_space:  global
        .offset:         56
        .size:           8
        .value_kind:     global_buffer
      - .offset:         64
        .size:           8
        .value_kind:     by_value
      - .offset:         72
        .size:           8
        .value_kind:     by_value
      - .offset:         80
        .size:           8
        .value_kind:     by_value
      - .address_space:  global
        .offset:         88
        .size:           8
        .value_kind:     global_buffer
      - .offset:         96
        .size:           8
        .value_kind:     by_value
      - .offset:         104
        .size:           8
        .value_kind:     by_value
      - .offset:         112
        .size:           8
        .value_kind:     by_value
      - .offset:         120
        .size:           4
        .value_kind:     by_value
      - .offset:         128
        .size:           4
        .value_kind:     hidden_block_count_x
      - .offset:         132
        .size:           4
        .value_kind:     hidden_block_count_y
      - .offset:         136
        .size:           4
        .value_kind:     hidden_block_count_z
      - .offset:         140
        .size:           2
        .value_kind:     hidden_group_size_x
      - .offset:         142
        .size:           2
        .value_kind:     hidden_group_size_y
      - .offset:         144
        .size:           2
        .value_kind:     hidden_group_size_z
      - .offset:         146
        .size:           2
        .value_kind:     hidden_remainder_x
      - .offset:         148
        .size:           2
        .value_kind:     hidden_remainder_y
      - .offset:         150
        .size:           2
        .value_kind:     hidden_remainder_z
      - .offset:         168
        .size:           8
        .value_kind:     hidden_global_offset_x
      - .offset:         176
        .size:           8
        .value_kind:     hidden_global_offset_y
      - .offset:         184
        .size:           8
        .value_kind:     hidden_global_offset_z
      - .offset:         192
        .size:           2
        .value_kind:     hidden_grid_dims
    .group_segment_fixed_size: 16384
    .kernarg_segment_align: 8
    .kernarg_segment_size: 384
    .language:       OpenCL C
    .language_version:
      - 2
      - 0
    .max_flat_workgroup_size: 1024
    .name:           _ZL24rocblas_symm_hemm_kernelILb0ELb1ELi32E19rocblas_complex_numIfEPKPKS1_PKPS1_EvbiiT2_T3_lllSA_lllT4_llli
    .private_segment_fixed_size: 0
    .sgpr_count:     32
    .sgpr_spill_count: 0
    .symbol:         _ZL24rocblas_symm_hemm_kernelILb0ELb1ELi32E19rocblas_complex_numIfEPKPKS1_PKPS1_EvbiiT2_T3_lllSA_lllT4_llli.kd
    .uniform_work_group_size: 1
    .uses_dynamic_stack: false
    .vgpr_count:     53
    .vgpr_spill_count: 0
    .wavefront_size: 32
    .workgroup_processor_mode: 1
  - .args:
      - .offset:         0
        .size:           4
        .value_kind:     by_value
      - .offset:         4
        .size:           4
        .value_kind:     by_value
      - .address_space:  global
        .offset:         8
        .size:           8
        .value_kind:     global_buffer
      - .address_space:  global
        .offset:         16
        .size:           8
        .value_kind:     global_buffer
      - .offset:         24
        .size:           8
        .value_kind:     by_value
      - .offset:         32
        .size:           8
        .value_kind:     by_value
      - .offset:         40
        .size:           8
        .value_kind:     by_value
      - .offset:         48
        .size:           4
        .value_kind:     by_value
      - .offset:         56
        .size:           4
        .value_kind:     hidden_block_count_x
      - .offset:         60
        .size:           4
        .value_kind:     hidden_block_count_y
      - .offset:         64
        .size:           4
        .value_kind:     hidden_block_count_z
      - .offset:         68
        .size:           2
        .value_kind:     hidden_group_size_x
      - .offset:         70
        .size:           2
        .value_kind:     hidden_group_size_y
      - .offset:         72
        .size:           2
        .value_kind:     hidden_group_size_z
      - .offset:         74
        .size:           2
        .value_kind:     hidden_remainder_x
      - .offset:         76
        .size:           2
        .value_kind:     hidden_remainder_y
      - .offset:         78
        .size:           2
        .value_kind:     hidden_remainder_z
      - .offset:         96
        .size:           8
        .value_kind:     hidden_global_offset_x
      - .offset:         104
        .size:           8
        .value_kind:     hidden_global_offset_y
      - .offset:         112
        .size:           8
        .value_kind:     hidden_global_offset_z
      - .offset:         120
        .size:           2
        .value_kind:     hidden_grid_dims
    .group_segment_fixed_size: 0
    .kernarg_segment_align: 8
    .kernarg_segment_size: 312
    .language:       OpenCL C
    .language_version:
      - 2
      - 0
    .max_flat_workgroup_size: 1024
    .name:           _ZL25rocblas_symm_scale_kernelILi128ELi8EPK19rocblas_complex_numIdEPKPS1_EviiT1_T2_llli
    .private_segment_fixed_size: 0
    .sgpr_count:     23
    .sgpr_spill_count: 0
    .symbol:         _ZL25rocblas_symm_scale_kernelILi128ELi8EPK19rocblas_complex_numIdEPKPS1_EviiT1_T2_llli.kd
    .uniform_work_group_size: 1
    .uses_dynamic_stack: false
    .vgpr_count:     12
    .vgpr_spill_count: 0
    .wavefront_size: 32
    .workgroup_processor_mode: 1
  - .args:
      - .offset:         0
        .size:           1
        .value_kind:     by_value
      - .offset:         4
        .size:           4
        .value_kind:     by_value
      - .offset:         8
        .size:           4
        .value_kind:     by_value
      - .address_space:  global
        .offset:         16
        .size:           8
        .value_kind:     global_buffer
      - .address_space:  global
        .offset:         24
        .size:           8
        .value_kind:     global_buffer
      - .offset:         32
        .size:           8
        .value_kind:     by_value
      - .offset:         40
        .size:           8
        .value_kind:     by_value
      - .offset:         48
        .size:           8
        .value_kind:     by_value
      - .address_space:  global
        .offset:         56
        .size:           8
        .value_kind:     global_buffer
      - .offset:         64
        .size:           8
        .value_kind:     by_value
      - .offset:         72
        .size:           8
        .value_kind:     by_value
      - .offset:         80
        .size:           8
        .value_kind:     by_value
      - .address_space:  global
        .offset:         88
        .size:           8
        .value_kind:     global_buffer
      - .offset:         96
        .size:           8
        .value_kind:     by_value
      - .offset:         104
        .size:           8
        .value_kind:     by_value
      - .offset:         112
        .size:           8
        .value_kind:     by_value
      - .offset:         120
        .size:           4
        .value_kind:     by_value
      - .offset:         128
        .size:           4
        .value_kind:     hidden_block_count_x
      - .offset:         132
        .size:           4
        .value_kind:     hidden_block_count_y
      - .offset:         136
        .size:           4
        .value_kind:     hidden_block_count_z
      - .offset:         140
        .size:           2
        .value_kind:     hidden_group_size_x
      - .offset:         142
        .size:           2
        .value_kind:     hidden_group_size_y
      - .offset:         144
        .size:           2
        .value_kind:     hidden_group_size_z
      - .offset:         146
        .size:           2
        .value_kind:     hidden_remainder_x
      - .offset:         148
        .size:           2
        .value_kind:     hidden_remainder_y
      - .offset:         150
        .size:           2
        .value_kind:     hidden_remainder_z
      - .offset:         168
        .size:           8
        .value_kind:     hidden_global_offset_x
      - .offset:         176
        .size:           8
        .value_kind:     hidden_global_offset_y
      - .offset:         184
        .size:           8
        .value_kind:     hidden_global_offset_z
      - .offset:         192
        .size:           2
        .value_kind:     hidden_grid_dims
    .group_segment_fixed_size: 32768
    .kernarg_segment_align: 8
    .kernarg_segment_size: 384
    .language:       OpenCL C
    .language_version:
      - 2
      - 0
    .max_flat_workgroup_size: 1024
    .name:           _ZL24rocblas_symm_hemm_kernelILb0ELb0ELi32EPK19rocblas_complex_numIdEPKS3_PKPS1_EvbiiT2_T3_lllSA_lllT4_llli
    .private_segment_fixed_size: 0
    .sgpr_count:     34
    .sgpr_spill_count: 0
    .symbol:         _ZL24rocblas_symm_hemm_kernelILb0ELb0ELi32EPK19rocblas_complex_numIdEPKS3_PKPS1_EvbiiT2_T3_lllSA_lllT4_llli.kd
    .uniform_work_group_size: 1
    .uses_dynamic_stack: false
    .vgpr_count:     51
    .vgpr_spill_count: 0
    .wavefront_size: 32
    .workgroup_processor_mode: 1
  - .args:
      - .offset:         0
        .size:           1
        .value_kind:     by_value
      - .offset:         4
        .size:           4
        .value_kind:     by_value
      - .offset:         8
        .size:           4
        .value_kind:     by_value
      - .address_space:  global
        .offset:         16
        .size:           8
        .value_kind:     global_buffer
      - .address_space:  global
        .offset:         24
        .size:           8
        .value_kind:     global_buffer
      - .offset:         32
        .size:           8
        .value_kind:     by_value
      - .offset:         40
        .size:           8
        .value_kind:     by_value
      - .offset:         48
        .size:           8
        .value_kind:     by_value
      - .address_space:  global
        .offset:         56
        .size:           8
        .value_kind:     global_buffer
      - .offset:         64
        .size:           8
        .value_kind:     by_value
      - .offset:         72
        .size:           8
        .value_kind:     by_value
      - .offset:         80
        .size:           8
        .value_kind:     by_value
      - .address_space:  global
        .offset:         88
        .size:           8
        .value_kind:     global_buffer
      - .offset:         96
        .size:           8
        .value_kind:     by_value
      - .offset:         104
        .size:           8
        .value_kind:     by_value
      - .offset:         112
        .size:           8
        .value_kind:     by_value
      - .offset:         120
        .size:           4
        .value_kind:     by_value
      - .offset:         128
        .size:           4
        .value_kind:     hidden_block_count_x
      - .offset:         132
        .size:           4
        .value_kind:     hidden_block_count_y
      - .offset:         136
        .size:           4
        .value_kind:     hidden_block_count_z
      - .offset:         140
        .size:           2
        .value_kind:     hidden_group_size_x
      - .offset:         142
        .size:           2
        .value_kind:     hidden_group_size_y
      - .offset:         144
        .size:           2
        .value_kind:     hidden_group_size_z
      - .offset:         146
        .size:           2
        .value_kind:     hidden_remainder_x
      - .offset:         148
        .size:           2
        .value_kind:     hidden_remainder_y
      - .offset:         150
        .size:           2
        .value_kind:     hidden_remainder_z
      - .offset:         168
        .size:           8
        .value_kind:     hidden_global_offset_x
      - .offset:         176
        .size:           8
        .value_kind:     hidden_global_offset_y
      - .offset:         184
        .size:           8
        .value_kind:     hidden_global_offset_z
      - .offset:         192
        .size:           2
        .value_kind:     hidden_grid_dims
    .group_segment_fixed_size: 32768
    .kernarg_segment_align: 8
    .kernarg_segment_size: 384
    .language:       OpenCL C
    .language_version:
      - 2
      - 0
    .max_flat_workgroup_size: 1024
    .name:           _ZL24rocblas_symm_hemm_kernelILb0ELb1ELi32EPK19rocblas_complex_numIdEPKS3_PKPS1_EvbiiT2_T3_lllSA_lllT4_llli
    .private_segment_fixed_size: 0
    .sgpr_count:     40
    .sgpr_spill_count: 0
    .symbol:         _ZL24rocblas_symm_hemm_kernelILb0ELb1ELi32EPK19rocblas_complex_numIdEPKS3_PKPS1_EvbiiT2_T3_lllSA_lllT4_llli.kd
    .uniform_work_group_size: 1
    .uses_dynamic_stack: false
    .vgpr_count:     51
    .vgpr_spill_count: 0
    .wavefront_size: 32
    .workgroup_processor_mode: 1
  - .args:
      - .offset:         0
        .size:           4
        .value_kind:     by_value
      - .offset:         4
        .size:           4
        .value_kind:     by_value
      - .offset:         8
        .size:           16
        .value_kind:     by_value
      - .address_space:  global
        .offset:         24
        .size:           8
        .value_kind:     global_buffer
      - .offset:         32
        .size:           8
        .value_kind:     by_value
      - .offset:         40
        .size:           8
        .value_kind:     by_value
      - .offset:         48
        .size:           8
        .value_kind:     by_value
      - .offset:         56
        .size:           4
        .value_kind:     by_value
      - .offset:         64
        .size:           4
        .value_kind:     hidden_block_count_x
      - .offset:         68
        .size:           4
        .value_kind:     hidden_block_count_y
      - .offset:         72
        .size:           4
        .value_kind:     hidden_block_count_z
      - .offset:         76
        .size:           2
        .value_kind:     hidden_group_size_x
      - .offset:         78
        .size:           2
        .value_kind:     hidden_group_size_y
      - .offset:         80
        .size:           2
        .value_kind:     hidden_group_size_z
      - .offset:         82
        .size:           2
        .value_kind:     hidden_remainder_x
      - .offset:         84
        .size:           2
        .value_kind:     hidden_remainder_y
      - .offset:         86
        .size:           2
        .value_kind:     hidden_remainder_z
      - .offset:         104
        .size:           8
        .value_kind:     hidden_global_offset_x
      - .offset:         112
        .size:           8
        .value_kind:     hidden_global_offset_y
      - .offset:         120
        .size:           8
        .value_kind:     hidden_global_offset_z
      - .offset:         128
        .size:           2
        .value_kind:     hidden_grid_dims
    .group_segment_fixed_size: 0
    .kernarg_segment_align: 8
    .kernarg_segment_size: 320
    .language:       OpenCL C
    .language_version:
      - 2
      - 0
    .max_flat_workgroup_size: 1024
    .name:           _ZL25rocblas_symm_scale_kernelILi128ELi8E19rocblas_complex_numIdEPKPS1_EviiT1_T2_llli
    .private_segment_fixed_size: 0
    .sgpr_count:     21
    .sgpr_spill_count: 0
    .symbol:         _ZL25rocblas_symm_scale_kernelILi128ELi8E19rocblas_complex_numIdEPKPS1_EviiT1_T2_llli.kd
    .uniform_work_group_size: 1
    .uses_dynamic_stack: false
    .vgpr_count:     12
    .vgpr_spill_count: 0
    .wavefront_size: 32
    .workgroup_processor_mode: 1
  - .args:
      - .offset:         0
        .size:           1
        .value_kind:     by_value
      - .offset:         4
        .size:           4
        .value_kind:     by_value
      - .offset:         8
        .size:           4
        .value_kind:     by_value
      - .offset:         16
        .size:           16
        .value_kind:     by_value
      - .address_space:  global
        .offset:         32
        .size:           8
        .value_kind:     global_buffer
      - .offset:         40
        .size:           8
        .value_kind:     by_value
      - .offset:         48
        .size:           8
        .value_kind:     by_value
      - .offset:         56
        .size:           8
        .value_kind:     by_value
      - .address_space:  global
        .offset:         64
        .size:           8
        .value_kind:     global_buffer
      - .offset:         72
        .size:           8
        .value_kind:     by_value
      - .offset:         80
        .size:           8
        .value_kind:     by_value
      - .offset:         88
        .size:           8
        .value_kind:     by_value
      - .address_space:  global
        .offset:         96
        .size:           8
        .value_kind:     global_buffer
      - .offset:         104
        .size:           8
        .value_kind:     by_value
      - .offset:         112
        .size:           8
        .value_kind:     by_value
      - .offset:         120
        .size:           8
        .value_kind:     by_value
      - .offset:         128
        .size:           4
        .value_kind:     by_value
      - .offset:         136
        .size:           4
        .value_kind:     hidden_block_count_x
      - .offset:         140
        .size:           4
        .value_kind:     hidden_block_count_y
      - .offset:         144
        .size:           4
        .value_kind:     hidden_block_count_z
      - .offset:         148
        .size:           2
        .value_kind:     hidden_group_size_x
      - .offset:         150
        .size:           2
        .value_kind:     hidden_group_size_y
      - .offset:         152
        .size:           2
        .value_kind:     hidden_group_size_z
      - .offset:         154
        .size:           2
        .value_kind:     hidden_remainder_x
      - .offset:         156
        .size:           2
        .value_kind:     hidden_remainder_y
      - .offset:         158
        .size:           2
        .value_kind:     hidden_remainder_z
      - .offset:         176
        .size:           8
        .value_kind:     hidden_global_offset_x
      - .offset:         184
        .size:           8
        .value_kind:     hidden_global_offset_y
      - .offset:         192
        .size:           8
        .value_kind:     hidden_global_offset_z
      - .offset:         200
        .size:           2
        .value_kind:     hidden_grid_dims
    .group_segment_fixed_size: 32768
    .kernarg_segment_align: 8
    .kernarg_segment_size: 392
    .language:       OpenCL C
    .language_version:
      - 2
      - 0
    .max_flat_workgroup_size: 1024
    .name:           _ZL24rocblas_symm_hemm_kernelILb0ELb0ELi32E19rocblas_complex_numIdEPKPKS1_PKPS1_EvbiiT2_T3_lllSA_lllT4_llli
    .private_segment_fixed_size: 0
    .sgpr_count:     30
    .sgpr_spill_count: 0
    .symbol:         _ZL24rocblas_symm_hemm_kernelILb0ELb0ELi32E19rocblas_complex_numIdEPKPKS1_PKPS1_EvbiiT2_T3_lllSA_lllT4_llli.kd
    .uniform_work_group_size: 1
    .uses_dynamic_stack: false
    .vgpr_count:     51
    .vgpr_spill_count: 0
    .wavefront_size: 32
    .workgroup_processor_mode: 1
  - .args:
      - .offset:         0
        .size:           1
        .value_kind:     by_value
      - .offset:         4
        .size:           4
        .value_kind:     by_value
      - .offset:         8
        .size:           4
        .value_kind:     by_value
      - .offset:         16
        .size:           16
        .value_kind:     by_value
      - .address_space:  global
        .offset:         32
        .size:           8
        .value_kind:     global_buffer
      - .offset:         40
        .size:           8
        .value_kind:     by_value
      - .offset:         48
        .size:           8
        .value_kind:     by_value
      - .offset:         56
        .size:           8
        .value_kind:     by_value
      - .address_space:  global
        .offset:         64
        .size:           8
        .value_kind:     global_buffer
      - .offset:         72
        .size:           8
        .value_kind:     by_value
      - .offset:         80
        .size:           8
        .value_kind:     by_value
      - .offset:         88
        .size:           8
        .value_kind:     by_value
      - .address_space:  global
        .offset:         96
        .size:           8
        .value_kind:     global_buffer
      - .offset:         104
        .size:           8
        .value_kind:     by_value
      - .offset:         112
        .size:           8
        .value_kind:     by_value
      - .offset:         120
        .size:           8
        .value_kind:     by_value
      - .offset:         128
        .size:           4
        .value_kind:     by_value
      - .offset:         136
        .size:           4
        .value_kind:     hidden_block_count_x
      - .offset:         140
        .size:           4
        .value_kind:     hidden_block_count_y
      - .offset:         144
        .size:           4
        .value_kind:     hidden_block_count_z
      - .offset:         148
        .size:           2
        .value_kind:     hidden_group_size_x
      - .offset:         150
        .size:           2
        .value_kind:     hidden_group_size_y
      - .offset:         152
        .size:           2
        .value_kind:     hidden_group_size_z
      - .offset:         154
        .size:           2
        .value_kind:     hidden_remainder_x
      - .offset:         156
        .size:           2
        .value_kind:     hidden_remainder_y
      - .offset:         158
        .size:           2
        .value_kind:     hidden_remainder_z
      - .offset:         176
        .size:           8
        .value_kind:     hidden_global_offset_x
      - .offset:         184
        .size:           8
        .value_kind:     hidden_global_offset_y
      - .offset:         192
        .size:           8
        .value_kind:     hidden_global_offset_z
      - .offset:         200
        .size:           2
        .value_kind:     hidden_grid_dims
    .group_segment_fixed_size: 32768
    .kernarg_segment_align: 8
    .kernarg_segment_size: 392
    .language:       OpenCL C
    .language_version:
      - 2
      - 0
    .max_flat_workgroup_size: 1024
    .name:           _ZL24rocblas_symm_hemm_kernelILb0ELb1ELi32E19rocblas_complex_numIdEPKPKS1_PKPS1_EvbiiT2_T3_lllSA_lllT4_llli
    .private_segment_fixed_size: 0
    .sgpr_count:     32
    .sgpr_spill_count: 0
    .symbol:         _ZL24rocblas_symm_hemm_kernelILb0ELb1ELi32E19rocblas_complex_numIdEPKPKS1_PKPS1_EvbiiT2_T3_lllSA_lllT4_llli.kd
    .uniform_work_group_size: 1
    .uses_dynamic_stack: false
    .vgpr_count:     51
    .vgpr_spill_count: 0
    .wavefront_size: 32
    .workgroup_processor_mode: 1
  - .args:
      - .offset:         0
        .size:           1
        .value_kind:     by_value
      - .offset:         4
        .size:           4
        .value_kind:     by_value
      - .offset:         8
        .size:           4
        .value_kind:     by_value
      - .address_space:  global
        .offset:         16
        .size:           8
        .value_kind:     global_buffer
      - .address_space:  global
        .offset:         24
        .size:           8
        .value_kind:     global_buffer
      - .offset:         32
        .size:           8
        .value_kind:     by_value
      - .offset:         40
        .size:           8
        .value_kind:     by_value
      - .offset:         48
        .size:           8
        .value_kind:     by_value
      - .address_space:  global
        .offset:         56
        .size:           8
        .value_kind:     global_buffer
      - .offset:         64
        .size:           8
        .value_kind:     by_value
      - .offset:         72
        .size:           8
        .value_kind:     by_value
      - .offset:         80
        .size:           8
        .value_kind:     by_value
      - .address_space:  global
        .offset:         88
        .size:           8
        .value_kind:     global_buffer
      - .offset:         96
        .size:           8
        .value_kind:     by_value
      - .offset:         104
        .size:           8
        .value_kind:     by_value
      - .offset:         112
        .size:           8
        .value_kind:     by_value
      - .offset:         120
        .size:           4
        .value_kind:     by_value
      - .offset:         128
        .size:           4
        .value_kind:     hidden_block_count_x
      - .offset:         132
        .size:           4
        .value_kind:     hidden_block_count_y
      - .offset:         136
        .size:           4
        .value_kind:     hidden_block_count_z
      - .offset:         140
        .size:           2
        .value_kind:     hidden_group_size_x
      - .offset:         142
        .size:           2
        .value_kind:     hidden_group_size_y
      - .offset:         144
        .size:           2
        .value_kind:     hidden_group_size_z
      - .offset:         146
        .size:           2
        .value_kind:     hidden_remainder_x
      - .offset:         148
        .size:           2
        .value_kind:     hidden_remainder_y
      - .offset:         150
        .size:           2
        .value_kind:     hidden_remainder_z
      - .offset:         168
        .size:           8
        .value_kind:     hidden_global_offset_x
      - .offset:         176
        .size:           8
        .value_kind:     hidden_global_offset_y
      - .offset:         184
        .size:           8
        .value_kind:     hidden_global_offset_z
      - .offset:         192
        .size:           2
        .value_kind:     hidden_grid_dims
    .group_segment_fixed_size: 16384
    .kernarg_segment_align: 8
    .kernarg_segment_size: 384
    .language:       OpenCL C
    .language_version:
      - 2
      - 0
    .max_flat_workgroup_size: 1024
    .name:           _ZL24rocblas_symm_hemm_kernelILb1ELb0ELi32EPK19rocblas_complex_numIfEPKS3_PKPS1_EvbiiT2_T3_lllSA_lllT4_llli
    .private_segment_fixed_size: 0
    .sgpr_count:     34
    .sgpr_spill_count: 0
    .symbol:         _ZL24rocblas_symm_hemm_kernelILb1ELb0ELi32EPK19rocblas_complex_numIfEPKS3_PKPS1_EvbiiT2_T3_lllSA_lllT4_llli.kd
    .uniform_work_group_size: 1
    .uses_dynamic_stack: false
    .vgpr_count:     59
    .vgpr_spill_count: 0
    .wavefront_size: 32
    .workgroup_processor_mode: 1
  - .args:
      - .offset:         0
        .size:           1
        .value_kind:     by_value
      - .offset:         4
        .size:           4
        .value_kind:     by_value
      - .offset:         8
        .size:           4
        .value_kind:     by_value
      - .address_space:  global
        .offset:         16
        .size:           8
        .value_kind:     global_buffer
      - .address_space:  global
        .offset:         24
        .size:           8
        .value_kind:     global_buffer
      - .offset:         32
        .size:           8
        .value_kind:     by_value
      - .offset:         40
        .size:           8
        .value_kind:     by_value
      - .offset:         48
        .size:           8
        .value_kind:     by_value
      - .address_space:  global
        .offset:         56
        .size:           8
        .value_kind:     global_buffer
      - .offset:         64
        .size:           8
        .value_kind:     by_value
      - .offset:         72
        .size:           8
        .value_kind:     by_value
      - .offset:         80
        .size:           8
        .value_kind:     by_value
      - .address_space:  global
        .offset:         88
        .size:           8
        .value_kind:     global_buffer
      - .offset:         96
        .size:           8
        .value_kind:     by_value
      - .offset:         104
        .size:           8
        .value_kind:     by_value
      - .offset:         112
        .size:           8
        .value_kind:     by_value
      - .offset:         120
        .size:           4
        .value_kind:     by_value
      - .offset:         128
        .size:           4
        .value_kind:     hidden_block_count_x
      - .offset:         132
        .size:           4
        .value_kind:     hidden_block_count_y
      - .offset:         136
        .size:           4
        .value_kind:     hidden_block_count_z
      - .offset:         140
        .size:           2
        .value_kind:     hidden_group_size_x
      - .offset:         142
        .size:           2
        .value_kind:     hidden_group_size_y
      - .offset:         144
        .size:           2
        .value_kind:     hidden_group_size_z
      - .offset:         146
        .size:           2
        .value_kind:     hidden_remainder_x
      - .offset:         148
        .size:           2
        .value_kind:     hidden_remainder_y
      - .offset:         150
        .size:           2
        .value_kind:     hidden_remainder_z
      - .offset:         168
        .size:           8
        .value_kind:     hidden_global_offset_x
      - .offset:         176
        .size:           8
        .value_kind:     hidden_global_offset_y
      - .offset:         184
        .size:           8
        .value_kind:     hidden_global_offset_z
      - .offset:         192
        .size:           2
        .value_kind:     hidden_grid_dims
    .group_segment_fixed_size: 16384
    .kernarg_segment_align: 8
    .kernarg_segment_size: 384
    .language:       OpenCL C
    .language_version:
      - 2
      - 0
    .max_flat_workgroup_size: 1024
    .name:           _ZL24rocblas_symm_hemm_kernelILb1ELb1ELi32EPK19rocblas_complex_numIfEPKS3_PKPS1_EvbiiT2_T3_lllSA_lllT4_llli
    .private_segment_fixed_size: 0
    .sgpr_count:     38
    .sgpr_spill_count: 0
    .symbol:         _ZL24rocblas_symm_hemm_kernelILb1ELb1ELi32EPK19rocblas_complex_numIfEPKS3_PKPS1_EvbiiT2_T3_lllSA_lllT4_llli.kd
    .uniform_work_group_size: 1
    .uses_dynamic_stack: false
    .vgpr_count:     59
    .vgpr_spill_count: 0
    .wavefront_size: 32
    .workgroup_processor_mode: 1
  - .args:
      - .offset:         0
        .size:           1
        .value_kind:     by_value
      - .offset:         4
        .size:           4
        .value_kind:     by_value
      - .offset:         8
        .size:           4
        .value_kind:     by_value
      - .offset:         12
        .size:           8
        .value_kind:     by_value
      - .address_space:  global
        .offset:         24
        .size:           8
        .value_kind:     global_buffer
      - .offset:         32
        .size:           8
        .value_kind:     by_value
      - .offset:         40
        .size:           8
        .value_kind:     by_value
      - .offset:         48
        .size:           8
        .value_kind:     by_value
      - .address_space:  global
        .offset:         56
        .size:           8
        .value_kind:     global_buffer
      - .offset:         64
        .size:           8
        .value_kind:     by_value
      - .offset:         72
        .size:           8
        .value_kind:     by_value
      - .offset:         80
        .size:           8
        .value_kind:     by_value
      - .address_space:  global
        .offset:         88
        .size:           8
        .value_kind:     global_buffer
      - .offset:         96
        .size:           8
        .value_kind:     by_value
      - .offset:         104
        .size:           8
        .value_kind:     by_value
      - .offset:         112
        .size:           8
        .value_kind:     by_value
      - .offset:         120
        .size:           4
        .value_kind:     by_value
      - .offset:         128
        .size:           4
        .value_kind:     hidden_block_count_x
      - .offset:         132
        .size:           4
        .value_kind:     hidden_block_count_y
      - .offset:         136
        .size:           4
        .value_kind:     hidden_block_count_z
      - .offset:         140
        .size:           2
        .value_kind:     hidden_group_size_x
      - .offset:         142
        .size:           2
        .value_kind:     hidden_group_size_y
      - .offset:         144
        .size:           2
        .value_kind:     hidden_group_size_z
      - .offset:         146
        .size:           2
        .value_kind:     hidden_remainder_x
      - .offset:         148
        .size:           2
        .value_kind:     hidden_remainder_y
      - .offset:         150
        .size:           2
        .value_kind:     hidden_remainder_z
      - .offset:         168
        .size:           8
        .value_kind:     hidden_global_offset_x
      - .offset:         176
        .size:           8
        .value_kind:     hidden_global_offset_y
      - .offset:         184
        .size:           8
        .value_kind:     hidden_global_offset_z
      - .offset:         192
        .size:           2
        .value_kind:     hidden_grid_dims
    .group_segment_fixed_size: 16384
    .kernarg_segment_align: 8
    .kernarg_segment_size: 384
    .language:       OpenCL C
    .language_version:
      - 2
      - 0
    .max_flat_workgroup_size: 1024
    .name:           _ZL24rocblas_symm_hemm_kernelILb1ELb0ELi32E19rocblas_complex_numIfEPKPKS1_PKPS1_EvbiiT2_T3_lllSA_lllT4_llli
    .private_segment_fixed_size: 0
    .sgpr_count:     30
    .sgpr_spill_count: 0
    .symbol:         _ZL24rocblas_symm_hemm_kernelILb1ELb0ELi32E19rocblas_complex_numIfEPKPKS1_PKPS1_EvbiiT2_T3_lllSA_lllT4_llli.kd
    .uniform_work_group_size: 1
    .uses_dynamic_stack: false
    .vgpr_count:     59
    .vgpr_spill_count: 0
    .wavefront_size: 32
    .workgroup_processor_mode: 1
  - .args:
      - .offset:         0
        .size:           1
        .value_kind:     by_value
      - .offset:         4
        .size:           4
        .value_kind:     by_value
      - .offset:         8
        .size:           4
        .value_kind:     by_value
      - .offset:         12
        .size:           8
        .value_kind:     by_value
      - .address_space:  global
        .offset:         24
        .size:           8
        .value_kind:     global_buffer
      - .offset:         32
        .size:           8
        .value_kind:     by_value
      - .offset:         40
        .size:           8
        .value_kind:     by_value
      - .offset:         48
        .size:           8
        .value_kind:     by_value
      - .address_space:  global
        .offset:         56
        .size:           8
        .value_kind:     global_buffer
      - .offset:         64
        .size:           8
        .value_kind:     by_value
      - .offset:         72
        .size:           8
        .value_kind:     by_value
      - .offset:         80
        .size:           8
        .value_kind:     by_value
      - .address_space:  global
        .offset:         88
        .size:           8
        .value_kind:     global_buffer
      - .offset:         96
        .size:           8
        .value_kind:     by_value
      - .offset:         104
        .size:           8
        .value_kind:     by_value
      - .offset:         112
        .size:           8
        .value_kind:     by_value
      - .offset:         120
        .size:           4
        .value_kind:     by_value
      - .offset:         128
        .size:           4
        .value_kind:     hidden_block_count_x
      - .offset:         132
        .size:           4
        .value_kind:     hidden_block_count_y
      - .offset:         136
        .size:           4
        .value_kind:     hidden_block_count_z
      - .offset:         140
        .size:           2
        .value_kind:     hidden_group_size_x
      - .offset:         142
        .size:           2
        .value_kind:     hidden_group_size_y
      - .offset:         144
        .size:           2
        .value_kind:     hidden_group_size_z
      - .offset:         146
        .size:           2
        .value_kind:     hidden_remainder_x
      - .offset:         148
        .size:           2
        .value_kind:     hidden_remainder_y
      - .offset:         150
        .size:           2
        .value_kind:     hidden_remainder_z
      - .offset:         168
        .size:           8
        .value_kind:     hidden_global_offset_x
      - .offset:         176
        .size:           8
        .value_kind:     hidden_global_offset_y
      - .offset:         184
        .size:           8
        .value_kind:     hidden_global_offset_z
      - .offset:         192
        .size:           2
        .value_kind:     hidden_grid_dims
    .group_segment_fixed_size: 16384
    .kernarg_segment_align: 8
    .kernarg_segment_size: 384
    .language:       OpenCL C
    .language_version:
      - 2
      - 0
    .max_flat_workgroup_size: 1024
    .name:           _ZL24rocblas_symm_hemm_kernelILb1ELb1ELi32E19rocblas_complex_numIfEPKPKS1_PKPS1_EvbiiT2_T3_lllSA_lllT4_llli
    .private_segment_fixed_size: 0
    .sgpr_count:     32
    .sgpr_spill_count: 0
    .symbol:         _ZL24rocblas_symm_hemm_kernelILb1ELb1ELi32E19rocblas_complex_numIfEPKPKS1_PKPS1_EvbiiT2_T3_lllSA_lllT4_llli.kd
    .uniform_work_group_size: 1
    .uses_dynamic_stack: false
    .vgpr_count:     59
    .vgpr_spill_count: 0
    .wavefront_size: 32
    .workgroup_processor_mode: 1
  - .args:
      - .offset:         0
        .size:           1
        .value_kind:     by_value
      - .offset:         4
        .size:           4
        .value_kind:     by_value
      - .offset:         8
        .size:           4
        .value_kind:     by_value
      - .address_space:  global
        .offset:         16
        .size:           8
        .value_kind:     global_buffer
      - .address_space:  global
        .offset:         24
        .size:           8
        .value_kind:     global_buffer
      - .offset:         32
        .size:           8
        .value_kind:     by_value
      - .offset:         40
        .size:           8
        .value_kind:     by_value
      - .offset:         48
        .size:           8
        .value_kind:     by_value
      - .address_space:  global
        .offset:         56
        .size:           8
        .value_kind:     global_buffer
      - .offset:         64
        .size:           8
        .value_kind:     by_value
      - .offset:         72
        .size:           8
        .value_kind:     by_value
      - .offset:         80
        .size:           8
        .value_kind:     by_value
      - .address_space:  global
        .offset:         88
        .size:           8
        .value_kind:     global_buffer
      - .offset:         96
        .size:           8
        .value_kind:     by_value
      - .offset:         104
        .size:           8
        .value_kind:     by_value
      - .offset:         112
        .size:           8
        .value_kind:     by_value
      - .offset:         120
        .size:           4
        .value_kind:     by_value
      - .offset:         128
        .size:           4
        .value_kind:     hidden_block_count_x
      - .offset:         132
        .size:           4
        .value_kind:     hidden_block_count_y
      - .offset:         136
        .size:           4
        .value_kind:     hidden_block_count_z
      - .offset:         140
        .size:           2
        .value_kind:     hidden_group_size_x
      - .offset:         142
        .size:           2
        .value_kind:     hidden_group_size_y
      - .offset:         144
        .size:           2
        .value_kind:     hidden_group_size_z
      - .offset:         146
        .size:           2
        .value_kind:     hidden_remainder_x
      - .offset:         148
        .size:           2
        .value_kind:     hidden_remainder_y
      - .offset:         150
        .size:           2
        .value_kind:     hidden_remainder_z
      - .offset:         168
        .size:           8
        .value_kind:     hidden_global_offset_x
      - .offset:         176
        .size:           8
        .value_kind:     hidden_global_offset_y
      - .offset:         184
        .size:           8
        .value_kind:     hidden_global_offset_z
      - .offset:         192
        .size:           2
        .value_kind:     hidden_grid_dims
    .group_segment_fixed_size: 32768
    .kernarg_segment_align: 8
    .kernarg_segment_size: 384
    .language:       OpenCL C
    .language_version:
      - 2
      - 0
    .max_flat_workgroup_size: 1024
    .name:           _ZL24rocblas_symm_hemm_kernelILb1ELb0ELi32EPK19rocblas_complex_numIdEPKS3_PKPS1_EvbiiT2_T3_lllSA_lllT4_llli
    .private_segment_fixed_size: 0
    .sgpr_count:     38
    .sgpr_spill_count: 0
    .symbol:         _ZL24rocblas_symm_hemm_kernelILb1ELb0ELi32EPK19rocblas_complex_numIdEPKS3_PKPS1_EvbiiT2_T3_lllSA_lllT4_llli.kd
    .uniform_work_group_size: 1
    .uses_dynamic_stack: false
    .vgpr_count:     57
    .vgpr_spill_count: 0
    .wavefront_size: 32
    .workgroup_processor_mode: 1
  - .args:
      - .offset:         0
        .size:           1
        .value_kind:     by_value
      - .offset:         4
        .size:           4
        .value_kind:     by_value
      - .offset:         8
        .size:           4
        .value_kind:     by_value
      - .address_space:  global
        .offset:         16
        .size:           8
        .value_kind:     global_buffer
      - .address_space:  global
        .offset:         24
        .size:           8
        .value_kind:     global_buffer
      - .offset:         32
        .size:           8
        .value_kind:     by_value
      - .offset:         40
        .size:           8
        .value_kind:     by_value
      - .offset:         48
        .size:           8
        .value_kind:     by_value
      - .address_space:  global
        .offset:         56
        .size:           8
        .value_kind:     global_buffer
      - .offset:         64
        .size:           8
        .value_kind:     by_value
      - .offset:         72
        .size:           8
        .value_kind:     by_value
      - .offset:         80
        .size:           8
        .value_kind:     by_value
      - .address_space:  global
        .offset:         88
        .size:           8
        .value_kind:     global_buffer
      - .offset:         96
        .size:           8
        .value_kind:     by_value
      - .offset:         104
        .size:           8
        .value_kind:     by_value
      - .offset:         112
        .size:           8
        .value_kind:     by_value
      - .offset:         120
        .size:           4
        .value_kind:     by_value
      - .offset:         128
        .size:           4
        .value_kind:     hidden_block_count_x
      - .offset:         132
        .size:           4
        .value_kind:     hidden_block_count_y
      - .offset:         136
        .size:           4
        .value_kind:     hidden_block_count_z
      - .offset:         140
        .size:           2
        .value_kind:     hidden_group_size_x
      - .offset:         142
        .size:           2
        .value_kind:     hidden_group_size_y
      - .offset:         144
        .size:           2
        .value_kind:     hidden_group_size_z
      - .offset:         146
        .size:           2
        .value_kind:     hidden_remainder_x
      - .offset:         148
        .size:           2
        .value_kind:     hidden_remainder_y
      - .offset:         150
        .size:           2
        .value_kind:     hidden_remainder_z
      - .offset:         168
        .size:           8
        .value_kind:     hidden_global_offset_x
      - .offset:         176
        .size:           8
        .value_kind:     hidden_global_offset_y
      - .offset:         184
        .size:           8
        .value_kind:     hidden_global_offset_z
      - .offset:         192
        .size:           2
        .value_kind:     hidden_grid_dims
    .group_segment_fixed_size: 32768
    .kernarg_segment_align: 8
    .kernarg_segment_size: 384
    .language:       OpenCL C
    .language_version:
      - 2
      - 0
    .max_flat_workgroup_size: 1024
    .name:           _ZL24rocblas_symm_hemm_kernelILb1ELb1ELi32EPK19rocblas_complex_numIdEPKS3_PKPS1_EvbiiT2_T3_lllSA_lllT4_llli
    .private_segment_fixed_size: 0
    .sgpr_count:     40
    .sgpr_spill_count: 0
    .symbol:         _ZL24rocblas_symm_hemm_kernelILb1ELb1ELi32EPK19rocblas_complex_numIdEPKS3_PKPS1_EvbiiT2_T3_lllSA_lllT4_llli.kd
    .uniform_work_group_size: 1
    .uses_dynamic_stack: false
    .vgpr_count:     57
    .vgpr_spill_count: 0
    .wavefront_size: 32
    .workgroup_processor_mode: 1
  - .args:
      - .offset:         0
        .size:           1
        .value_kind:     by_value
      - .offset:         4
        .size:           4
        .value_kind:     by_value
      - .offset:         8
        .size:           4
        .value_kind:     by_value
      - .offset:         16
        .size:           16
        .value_kind:     by_value
      - .address_space:  global
        .offset:         32
        .size:           8
        .value_kind:     global_buffer
      - .offset:         40
        .size:           8
        .value_kind:     by_value
      - .offset:         48
        .size:           8
        .value_kind:     by_value
      - .offset:         56
        .size:           8
        .value_kind:     by_value
      - .address_space:  global
        .offset:         64
        .size:           8
        .value_kind:     global_buffer
      - .offset:         72
        .size:           8
        .value_kind:     by_value
      - .offset:         80
        .size:           8
        .value_kind:     by_value
      - .offset:         88
        .size:           8
        .value_kind:     by_value
      - .address_space:  global
        .offset:         96
        .size:           8
        .value_kind:     global_buffer
      - .offset:         104
        .size:           8
        .value_kind:     by_value
      - .offset:         112
        .size:           8
        .value_kind:     by_value
      - .offset:         120
        .size:           8
        .value_kind:     by_value
      - .offset:         128
        .size:           4
        .value_kind:     by_value
      - .offset:         136
        .size:           4
        .value_kind:     hidden_block_count_x
      - .offset:         140
        .size:           4
        .value_kind:     hidden_block_count_y
      - .offset:         144
        .size:           4
        .value_kind:     hidden_block_count_z
      - .offset:         148
        .size:           2
        .value_kind:     hidden_group_size_x
      - .offset:         150
        .size:           2
        .value_kind:     hidden_group_size_y
      - .offset:         152
        .size:           2
        .value_kind:     hidden_group_size_z
      - .offset:         154
        .size:           2
        .value_kind:     hidden_remainder_x
      - .offset:         156
        .size:           2
        .value_kind:     hidden_remainder_y
      - .offset:         158
        .size:           2
        .value_kind:     hidden_remainder_z
      - .offset:         176
        .size:           8
        .value_kind:     hidden_global_offset_x
      - .offset:         184
        .size:           8
        .value_kind:     hidden_global_offset_y
      - .offset:         192
        .size:           8
        .value_kind:     hidden_global_offset_z
      - .offset:         200
        .size:           2
        .value_kind:     hidden_grid_dims
    .group_segment_fixed_size: 32768
    .kernarg_segment_align: 8
    .kernarg_segment_size: 392
    .language:       OpenCL C
    .language_version:
      - 2
      - 0
    .max_flat_workgroup_size: 1024
    .name:           _ZL24rocblas_symm_hemm_kernelILb1ELb0ELi32E19rocblas_complex_numIdEPKPKS1_PKPS1_EvbiiT2_T3_lllSA_lllT4_llli
    .private_segment_fixed_size: 0
    .sgpr_count:     32
    .sgpr_spill_count: 0
    .symbol:         _ZL24rocblas_symm_hemm_kernelILb1ELb0ELi32E19rocblas_complex_numIdEPKPKS1_PKPS1_EvbiiT2_T3_lllSA_lllT4_llli.kd
    .uniform_work_group_size: 1
    .uses_dynamic_stack: false
    .vgpr_count:     57
    .vgpr_spill_count: 0
    .wavefront_size: 32
    .workgroup_processor_mode: 1
  - .args:
      - .offset:         0
        .size:           1
        .value_kind:     by_value
      - .offset:         4
        .size:           4
        .value_kind:     by_value
      - .offset:         8
        .size:           4
        .value_kind:     by_value
      - .offset:         16
        .size:           16
        .value_kind:     by_value
      - .address_space:  global
        .offset:         32
        .size:           8
        .value_kind:     global_buffer
      - .offset:         40
        .size:           8
        .value_kind:     by_value
      - .offset:         48
        .size:           8
        .value_kind:     by_value
      - .offset:         56
        .size:           8
        .value_kind:     by_value
      - .address_space:  global
        .offset:         64
        .size:           8
        .value_kind:     global_buffer
      - .offset:         72
        .size:           8
        .value_kind:     by_value
      - .offset:         80
        .size:           8
        .value_kind:     by_value
      - .offset:         88
        .size:           8
        .value_kind:     by_value
      - .address_space:  global
        .offset:         96
        .size:           8
        .value_kind:     global_buffer
      - .offset:         104
        .size:           8
        .value_kind:     by_value
      - .offset:         112
        .size:           8
        .value_kind:     by_value
      - .offset:         120
        .size:           8
        .value_kind:     by_value
      - .offset:         128
        .size:           4
        .value_kind:     by_value
      - .offset:         136
        .size:           4
        .value_kind:     hidden_block_count_x
      - .offset:         140
        .size:           4
        .value_kind:     hidden_block_count_y
      - .offset:         144
        .size:           4
        .value_kind:     hidden_block_count_z
      - .offset:         148
        .size:           2
        .value_kind:     hidden_group_size_x
      - .offset:         150
        .size:           2
        .value_kind:     hidden_group_size_y
      - .offset:         152
        .size:           2
        .value_kind:     hidden_group_size_z
      - .offset:         154
        .size:           2
        .value_kind:     hidden_remainder_x
      - .offset:         156
        .size:           2
        .value_kind:     hidden_remainder_y
      - .offset:         158
        .size:           2
        .value_kind:     hidden_remainder_z
      - .offset:         176
        .size:           8
        .value_kind:     hidden_global_offset_x
      - .offset:         184
        .size:           8
        .value_kind:     hidden_global_offset_y
      - .offset:         192
        .size:           8
        .value_kind:     hidden_global_offset_z
      - .offset:         200
        .size:           2
        .value_kind:     hidden_grid_dims
    .group_segment_fixed_size: 32768
    .kernarg_segment_align: 8
    .kernarg_segment_size: 392
    .language:       OpenCL C
    .language_version:
      - 2
      - 0
    .max_flat_workgroup_size: 1024
    .name:           _ZL24rocblas_symm_hemm_kernelILb1ELb1ELi32E19rocblas_complex_numIdEPKPKS1_PKPS1_EvbiiT2_T3_lllSA_lllT4_llli
    .private_segment_fixed_size: 0
    .sgpr_count:     32
    .sgpr_spill_count: 0
    .symbol:         _ZL24rocblas_symm_hemm_kernelILb1ELb1ELi32E19rocblas_complex_numIdEPKPKS1_PKPS1_EvbiiT2_T3_lllSA_lllT4_llli.kd
    .uniform_work_group_size: 1
    .uses_dynamic_stack: false
    .vgpr_count:     57
    .vgpr_spill_count: 0
    .wavefront_size: 32
    .workgroup_processor_mode: 1
amdhsa.target:   amdgcn-amd-amdhsa--gfx1100
amdhsa.version:
  - 1
  - 2
...

	.end_amdgpu_metadata
